;; amdgpu-corpus repo=ROCm/rocBLAS kind=compiled arch=gfx1100 opt=O3
	.text
	.amdgcn_target "amdgcn-amd-amdhsa--gfx1100"
	.amdhsa_code_object_version 6
	.section	.text._ZL20rocblas_hbmvn_kernelILi64ELi16EPK19rocblas_complex_numIfES3_PS1_EvbiiT1_T2_lllS6_lllS5_T3_llli,"axG",@progbits,_ZL20rocblas_hbmvn_kernelILi64ELi16EPK19rocblas_complex_numIfES3_PS1_EvbiiT1_T2_lllS6_lllS5_T3_llli,comdat
	.globl	_ZL20rocblas_hbmvn_kernelILi64ELi16EPK19rocblas_complex_numIfES3_PS1_EvbiiT1_T2_lllS6_lllS5_T3_llli ; -- Begin function _ZL20rocblas_hbmvn_kernelILi64ELi16EPK19rocblas_complex_numIfES3_PS1_EvbiiT1_T2_lllS6_lllS5_T3_llli
	.p2align	8
	.type	_ZL20rocblas_hbmvn_kernelILi64ELi16EPK19rocblas_complex_numIfES3_PS1_EvbiiT1_T2_lllS6_lllS5_T3_llli,@function
_ZL20rocblas_hbmvn_kernelILi64ELi16EPK19rocblas_complex_numIfES3_PS1_EvbiiT1_T2_lllS6_lllS5_T3_llli: ; @_ZL20rocblas_hbmvn_kernelILi64ELi16EPK19rocblas_complex_numIfES3_PS1_EvbiiT1_T2_lllS6_lllS5_T3_llli
; %bb.0:
	s_load_b64 s[2:3], s[0:1], 0x94
	s_waitcnt lgkmcnt(0)
	s_lshr_b32 s4, s2, 16
	s_and_b32 s2, s2, 0xffff
	s_and_b32 s3, s3, 0xffff
	s_mul_i32 s4, s4, s2
	s_delay_alu instid0(SALU_CYCLE_1) | instskip(NEXT) | instid1(SALU_CYCLE_1)
	s_mul_i32 s4, s4, s3
	s_cmpk_lg_i32 s4, 0x400
	s_cbranch_scc1 .LBB0_49
; %bb.1:
	s_clause 0x1
	s_load_b512 s[16:31], s[0:1], 0x10
	s_load_b256 s[4:11], s[0:1], 0x50
	s_waitcnt lgkmcnt(0)
	s_load_b64 s[12:13], s[16:17], 0x0
	s_load_b64 s[6:7], s[6:7], 0x0
	s_waitcnt lgkmcnt(0)
	v_cmp_neq_f32_e64 s3, s12, 0
	v_cmp_neq_f32_e64 s16, s13, 0
	s_delay_alu instid0(VALU_DEP_1) | instskip(NEXT) | instid1(SALU_CYCLE_1)
	s_or_b32 s3, s3, s16
	s_and_b32 vcc_lo, exec_lo, s3
	s_mov_b32 s3, -1
	s_cbranch_vccnz .LBB0_3
; %bb.2:
	v_cmp_neq_f32_e64 s3, s6, 1.0
	v_cmp_neq_f32_e64 s16, s7, 0
	s_delay_alu instid0(VALU_DEP_1)
	s_or_b32 s3, s3, s16
.LBB0_3:
	s_delay_alu instid0(SALU_CYCLE_1)
	s_and_not1_b32 vcc_lo, exec_lo, s3
	s_cbranch_vccnz .LBB0_49
; %bb.4:
	s_clause 0x1
	s_load_b128 s[36:39], s[0:1], 0x70
	s_load_b128 s[40:43], s[0:1], 0x0
	v_and_b32_e32 v1, 0x3ff, v0
	s_or_b32 s0, s12, s13
	v_bfe_u32 v0, v0, 10, 10
	s_bitset0_b32 s0, 31
	s_mov_b32 s34, 0
	s_cmp_eq_u32 s0, 0
	s_delay_alu instid0(VALU_DEP_1) | instskip(SKIP_1) | instid1(SALU_CYCLE_1)
	v_mad_u32_u24 v11, v0, s2, v1
	s_cselect_b32 s33, -1, 0
	s_and_b32 vcc_lo, exec_lo, s33
	s_cbranch_vccnz .LBB0_37
; %bb.5:
	s_delay_alu instid0(VALU_DEP_1) | instskip(SKIP_3) | instid1(VALU_DEP_2)
	v_lshrrev_b32_e32 v12, 6, v11
	v_dual_mov_b32 v5, 0 :: v_dual_mov_b32 v4, 0
	s_mov_b32 s35, exec_lo
	s_waitcnt lgkmcnt(0)
	v_cmpx_gt_i32_e64 s41, v12
	s_cbranch_execz .LBB0_36
; %bb.6:
	v_and_b32_e32 v17, 63, v11
	s_lshl_b32 s43, s14, 6
	s_mul_i32 s0, s15, s25
	s_mul_hi_u32 s1, s15, s24
	s_lshl_b64 s[16:17], s[20:21], 3
	v_or_b32_e32 v0, s43, v17
	s_add_i32 s1, s1, s0
	s_mul_i32 s0, s15, s24
	v_mad_u64_u32 v[2:3], null, s30, v12, 0
	s_lshl_b64 s[2:3], s[0:1], 3
	v_mad_u64_u32 v[4:5], null, v0, s22, 0
	s_add_u32 s44, s18, s2
	s_addc_u32 s45, s19, s3
	s_add_u32 s46, s44, s16
	s_addc_u32 s47, s45, s17
	s_bitcmp1_b32 s40, 0
	v_ashrrev_i32_e32 v1, 31, v0
	s_cselect_b32 s0, -1, 0
	v_mad_u64_u32 v[6:7], null, s31, v12, v[3:4]
	s_and_b32 s1, s0, exec_lo
	s_cselect_b32 s40, s42, 0
	s_xor_b32 s24, s0, -1
	v_mul_lo_u32 v8, v1, s22
	v_mul_lo_u32 v9, v0, s23
	s_cmp_eq_u32 s42, 0
	s_mul_i32 s5, s5, s15
	s_cselect_b32 s20, -1, 0
	v_mov_b32_e32 v3, v6
	s_or_b32 s25, s20, s24
	s_mul_hi_u32 s20, s4, s15
	v_mad_u64_u32 v[6:7], null, s22, v12, 0
	s_add_i32 s5, s20, s5
	s_mul_i32 s4, s4, s15
	s_lshl_b64 s[20:21], s[28:29], 3
	v_add3_u32 v5, v5, v9, v8
	s_lshl_b64 s[4:5], s[4:5], 3
	s_add_u32 s20, s26, s20
	s_addc_u32 s21, s27, s21
	s_add_u32 s28, s20, s4
	s_addc_u32 s29, s21, s5
	s_lshl_b64 s[26:27], s[22:23], 3
	v_lshlrev_b64 v[4:5], 3, v[4:5]
	s_lshl_b64 s[4:5], s[30:31], 7
	s_lshl_b64 s[20:21], s[22:23], 7
	v_mad_u64_u32 v[8:9], null, s23, v12, v[7:8]
	s_add_u32 s22, s26, -8
	v_lshlrev_b64 v[2:3], 3, v[2:3]
	v_mad_u64_u32 v[9:10], null, v12, s22, s[2:3]
	v_add_co_u32 v13, vcc_lo, s46, v4
	v_add_co_ci_u32_e32 v14, vcc_lo, s47, v5, vcc_lo
	v_mov_b32_e32 v7, v8
	v_add_co_u32 v8, vcc_lo, s28, v2
	v_add_co_ci_u32_e32 v3, vcc_lo, s29, v3, vcc_lo
	v_mov_b32_e32 v2, v10
	s_addc_u32 s2, s27, -1
	v_lshlrev_b64 v[4:5], 3, v[6:7]
	v_sub_nc_u32_e32 v10, s40, v17
	v_cmp_gt_i32_e64 s1, s41, v0
	v_mad_u64_u32 v[6:7], null, v12, s2, v[2:3]
	v_add_co_u32 v2, vcc_lo, v8, 4
	v_lshlrev_b64 v[7:8], 3, v[0:1]
	v_add_co_ci_u32_e32 v3, vcc_lo, 0, v3, vcc_lo
	v_add_co_u32 v1, vcc_lo, s44, v4
	v_mov_b32_e32 v4, v6
	v_add_co_ci_u32_e32 v16, vcc_lo, s45, v5, vcc_lo
	v_add_co_u32 v7, vcc_lo, v9, v7
	v_add3_u32 v5, s42, s43, v17
	s_delay_alu instid0(VALU_DEP_4) | instskip(NEXT) | instid1(VALU_DEP_3)
	v_add_co_ci_u32_e32 v4, vcc_lo, v4, v8, vcc_lo
	v_add_co_u32 v17, vcc_lo, s18, v7
	v_subrev_nc_u32_e32 v15, s43, v10
	s_delay_alu instid0(VALU_DEP_4) | instskip(NEXT) | instid1(VALU_DEP_4)
	v_sub_nc_u32_e32 v6, v5, v12
	v_add_co_ci_u32_e32 v18, vcc_lo, s19, v4, vcc_lo
	v_sub_nc_u32_e32 v19, v0, v12
	v_dual_mov_b32 v5, 0 :: v_dual_mov_b32 v4, 0
	v_mov_b32_e32 v8, 0
	s_add_u32 s3, s20, 0xffffff80
	s_addc_u32 s18, s21, -1
	s_branch .LBB0_10
.LBB0_7:                                ;   in Loop: Header=BB0_10 Depth=1
	s_or_b32 exec_lo, exec_lo, s2
.LBB0_8:                                ;   in Loop: Header=BB0_10 Depth=1
	s_delay_alu instid0(SALU_CYCLE_1)
	s_or_b32 exec_lo, exec_lo, s22
.LBB0_9:                                ;   in Loop: Header=BB0_10 Depth=1
	s_delay_alu instid0(SALU_CYCLE_1)
	s_or_b32 exec_lo, exec_lo, s19
	v_add_co_u32 v2, vcc_lo, v2, s4
	v_add_nc_u32_e32 v12, 16, v12
	v_add_co_ci_u32_e32 v3, vcc_lo, s5, v3, vcc_lo
	v_add_co_u32 v1, vcc_lo, v1, s20
	v_add_co_ci_u32_e32 v16, vcc_lo, s21, v16, vcc_lo
	s_delay_alu instid0(VALU_DEP_4)
	v_cmp_le_i32_e32 vcc_lo, s41, v12
	v_add_co_u32 v17, s2, v17, s3
	v_add_nc_u32_e32 v6, -16, v6
	v_add_co_ci_u32_e64 v18, s2, s18, v18, s2
	v_add_nc_u32_e32 v19, -16, v19
	s_or_b32 s34, vcc_lo, s34
	s_delay_alu instid0(SALU_CYCLE_1)
	s_and_not1_b32 exec_lo, exec_lo, s34
	s_cbranch_execz .LBB0_35
.LBB0_10:                               ; =>This Inner Loop Header: Depth=1
	s_and_saveexec_b32 s19, s1
	s_cbranch_execz .LBB0_9
; %bb.11:                               ;   in Loop: Header=BB0_10 Depth=1
	v_cmp_lt_i32_e32 vcc_lo, v12, v0
	v_cmp_gt_i32_e64 s2, v12, v0
	s_or_b32 s22, vcc_lo, s24
	s_delay_alu instid0(VALU_DEP_1) | instskip(NEXT) | instid1(SALU_CYCLE_1)
	s_or_b32 s2, s2, s0
	s_and_b32 s2, s22, s2
	s_delay_alu instid0(SALU_CYCLE_1) | instskip(NEXT) | instid1(SALU_CYCLE_1)
	s_xor_b32 s2, s2, -1
	s_and_saveexec_b32 s22, s2
	s_delay_alu instid0(SALU_CYCLE_1)
	s_xor_b32 s22, exec_lo, s22
	s_cbranch_execz .LBB0_32
; %bb.12:                               ;   in Loop: Header=BB0_10 Depth=1
	v_add_nc_u32_e32 v7, s42, v19
	s_delay_alu instid0(VALU_DEP_1) | instskip(NEXT) | instid1(VALU_DEP_1)
	v_cndmask_b32_e64 v7, v19, v7, s0
	v_cmp_le_i32_e32 vcc_lo, s42, v7
	v_cmp_gt_i32_e64 s2, 1, v7
	s_delay_alu instid0(VALU_DEP_1) | instskip(NEXT) | instid1(SALU_CYCLE_1)
	s_or_b32 s2, vcc_lo, s2
	s_and_saveexec_b32 s23, s2
	s_delay_alu instid0(SALU_CYCLE_1)
	s_xor_b32 s2, exec_lo, s23
	s_cbranch_execz .LBB0_29
; %bb.13:                               ;   in Loop: Header=BB0_10 Depth=1
	s_mov_b32 s23, exec_lo
	v_cmpx_ne_u32_e32 0, v7
	s_xor_b32 s23, exec_lo, s23
	s_cbranch_execz .LBB0_22
; %bb.14:                               ;   in Loop: Header=BB0_10 Depth=1
	s_mov_b32 s26, exec_lo
	v_cmpx_eq_u32_e64 s42, v7
	s_cbranch_execz .LBB0_21
; %bb.15:                               ;   in Loop: Header=BB0_10 Depth=1
	s_and_b32 vcc_lo, exec_lo, s24
	s_cbranch_vccz .LBB0_17
; %bb.16:                               ;   in Loop: Header=BB0_10 Depth=1
	v_add_co_u32 v9, vcc_lo, v17, s16
	v_add_co_ci_u32_e32 v10, vcc_lo, s17, v18, vcc_lo
	s_mov_b32 s27, 0
	global_load_b64 v[20:21], v[2:3], off offset:-4
	global_load_b64 v[9:10], v[9:10], off
	s_waitcnt vmcnt(0)
	v_mul_f32_e32 v7, v21, v10
	v_mul_f32_e32 v10, v20, v10
	s_delay_alu instid0(VALU_DEP_2) | instskip(NEXT) | instid1(VALU_DEP_1)
	v_fma_f32 v7, v20, v9, -v7
	v_dual_fmac_f32 v10, v21, v9 :: v_dual_add_f32 v9, v4, v7
	s_delay_alu instid0(VALU_DEP_1)
	v_add_f32_e32 v7, v5, v10
	s_branch .LBB0_18
.LBB0_17:                               ;   in Loop: Header=BB0_10 Depth=1
	s_mov_b32 s27, -1
                                        ; implicit-def: $vgpr7
                                        ; implicit-def: $vgpr9
.LBB0_18:                               ;   in Loop: Header=BB0_10 Depth=1
	s_delay_alu instid0(SALU_CYCLE_1)
	s_and_not1_b32 vcc_lo, exec_lo, s27
	s_cbranch_vccnz .LBB0_20
; %bb.19:                               ;   in Loop: Header=BB0_10 Depth=1
	v_ashrrev_i32_e32 v7, 31, v6
	s_delay_alu instid0(VALU_DEP_1) | instskip(NEXT) | instid1(VALU_DEP_1)
	v_lshlrev_b64 v[9:10], 3, v[6:7]
	v_add_co_u32 v7, vcc_lo, v1, v9
	s_delay_alu instid0(VALU_DEP_2) | instskip(NEXT) | instid1(VALU_DEP_2)
	v_add_co_ci_u32_e32 v10, vcc_lo, v16, v10, vcc_lo
	v_add_co_u32 v9, vcc_lo, v7, s16
	s_delay_alu instid0(VALU_DEP_2) | instskip(SKIP_4) | instid1(VALU_DEP_1)
	v_add_co_ci_u32_e32 v10, vcc_lo, s17, v10, vcc_lo
	global_load_b64 v[20:21], v[2:3], off offset:-4
	global_load_b32 v7, v[9:10], off
	s_waitcnt vmcnt(0)
	v_fmac_f32_e32 v5, v7, v21
	v_dual_fmac_f32 v4, v7, v20 :: v_dual_mov_b32 v7, v5
	s_delay_alu instid0(VALU_DEP_1)
	v_mov_b32_e32 v9, v4
.LBB0_20:                               ;   in Loop: Header=BB0_10 Depth=1
	s_delay_alu instid0(VALU_DEP_1)
	v_dual_mov_b32 v5, v7 :: v_dual_mov_b32 v4, v9
.LBB0_21:                               ;   in Loop: Header=BB0_10 Depth=1
	s_or_b32 exec_lo, exec_lo, s26
.LBB0_22:                               ;   in Loop: Header=BB0_10 Depth=1
	s_and_not1_saveexec_b32 s23, s23
	s_cbranch_execz .LBB0_28
; %bb.23:                               ;   in Loop: Header=BB0_10 Depth=1
	v_add_co_u32 v9, vcc_lo, v1, s16
	v_add_co_ci_u32_e32 v10, vcc_lo, s17, v16, vcc_lo
	s_and_not1_b32 vcc_lo, exec_lo, s25
	s_cbranch_vccnz .LBB0_25
; %bb.24:                               ;   in Loop: Header=BB0_10 Depth=1
	global_load_b32 v22, v[9:10], off
	global_load_b64 v[20:21], v[2:3], off offset:-4
	s_waitcnt vmcnt(0)
	v_fma_f32 v7, v22, v20, v4
	v_fma_f32 v20, v22, v21, v5
	s_cbranch_execz .LBB0_26
	s_branch .LBB0_27
.LBB0_25:                               ;   in Loop: Header=BB0_10 Depth=1
                                        ; implicit-def: $vgpr20
                                        ; implicit-def: $vgpr7
.LBB0_26:                               ;   in Loop: Header=BB0_10 Depth=1
	global_load_b64 v[9:10], v[9:10], off
	global_load_b64 v[20:21], v[2:3], off offset:-4
	s_waitcnt vmcnt(0)
	v_mul_f32_e32 v7, v21, v10
	v_mul_f32_e32 v10, v20, v10
	s_delay_alu instid0(VALU_DEP_2) | instskip(NEXT) | instid1(VALU_DEP_1)
	v_fma_f32 v7, v20, v9, -v7
	v_dual_fmac_f32 v10, v21, v9 :: v_dual_add_f32 v7, v4, v7
	s_delay_alu instid0(VALU_DEP_1)
	v_add_f32_e32 v20, v5, v10
.LBB0_27:                               ;   in Loop: Header=BB0_10 Depth=1
	s_delay_alu instid0(VALU_DEP_1)
	v_dual_mov_b32 v5, v20 :: v_dual_mov_b32 v4, v7
.LBB0_28:                               ;   in Loop: Header=BB0_10 Depth=1
	s_or_b32 exec_lo, exec_lo, s23
.LBB0_29:                               ;   in Loop: Header=BB0_10 Depth=1
	s_and_not1_saveexec_b32 s2, s2
	s_cbranch_execz .LBB0_31
; %bb.30:                               ;   in Loop: Header=BB0_10 Depth=1
	v_lshlrev_b64 v[9:10], 3, v[7:8]
	v_add_co_u32 v7, vcc_lo, v1, s16
	v_add_co_ci_u32_e32 v20, vcc_lo, s17, v16, vcc_lo
	s_delay_alu instid0(VALU_DEP_2) | instskip(NEXT) | instid1(VALU_DEP_2)
	v_add_co_u32 v9, vcc_lo, v7, v9
	v_add_co_ci_u32_e32 v10, vcc_lo, v20, v10, vcc_lo
	global_load_b64 v[20:21], v[2:3], off offset:-4
	global_load_b64 v[9:10], v[9:10], off
	s_waitcnt vmcnt(0)
	v_mul_f32_e32 v7, v21, v10
	v_mul_f32_e32 v10, v20, v10
	s_delay_alu instid0(VALU_DEP_2) | instskip(NEXT) | instid1(VALU_DEP_2)
	v_fma_f32 v7, v20, v9, -v7
	v_fmac_f32_e32 v10, v21, v9
	s_delay_alu instid0(VALU_DEP_1)
	v_dual_add_f32 v4, v4, v7 :: v_dual_add_f32 v5, v5, v10
.LBB0_31:                               ;   in Loop: Header=BB0_10 Depth=1
	s_or_b32 exec_lo, exec_lo, s2
.LBB0_32:                               ;   in Loop: Header=BB0_10 Depth=1
	s_and_not1_saveexec_b32 s22, s22
	s_cbranch_execz .LBB0_8
; %bb.33:                               ;   in Loop: Header=BB0_10 Depth=1
	v_add_nc_u32_e32 v7, v15, v12
	s_delay_alu instid0(VALU_DEP_1) | instskip(SKIP_1) | instid1(VALU_DEP_1)
	v_cmp_ge_i32_e32 vcc_lo, s42, v7
	v_cmp_lt_i32_e64 s2, -1, v7
	s_and_b32 s23, vcc_lo, s2
	s_delay_alu instid0(SALU_CYCLE_1)
	s_and_saveexec_b32 s2, s23
	s_cbranch_execz .LBB0_7
; %bb.34:                               ;   in Loop: Header=BB0_10 Depth=1
	v_lshlrev_b64 v[9:10], 3, v[7:8]
	s_delay_alu instid0(VALU_DEP_1) | instskip(NEXT) | instid1(VALU_DEP_2)
	v_add_co_u32 v9, vcc_lo, v13, v9
	v_add_co_ci_u32_e32 v10, vcc_lo, v14, v10, vcc_lo
	global_load_b64 v[20:21], v[2:3], off offset:-4
	global_load_b64 v[9:10], v[9:10], off
	s_waitcnt vmcnt(0)
	v_mul_f32_e32 v7, v10, v21
	v_mul_f32_e32 v10, v10, v20
	s_delay_alu instid0(VALU_DEP_2) | instskip(NEXT) | instid1(VALU_DEP_2)
	v_fmac_f32_e32 v7, v9, v20
	v_fma_f32 v9, v9, v21, -v10
	s_delay_alu instid0(VALU_DEP_1)
	v_dual_add_f32 v4, v4, v7 :: v_dual_add_f32 v5, v5, v9
	s_branch .LBB0_7
.LBB0_35:
	s_or_b32 exec_lo, exec_lo, s34
.LBB0_36:
	s_delay_alu instid0(SALU_CYCLE_1)
	s_or_b32 exec_lo, exec_lo, s35
	v_lshlrev_b32_e32 v0, 3, v11
	ds_store_b64 v0, v[4:5]
	s_waitcnt lgkmcnt(0)
	s_barrier
	buffer_gl0_inv
.LBB0_37:
	s_mov_b32 s0, exec_lo
	v_cmpx_gt_u32_e32 64, v11
	s_cbranch_execz .LBB0_49
; %bb.38:
	s_waitcnt lgkmcnt(0)
	s_mul_i32 s1, s15, s39
	s_mul_hi_u32 s2, s15, s38
	s_mul_i32 s0, s15, s38
	s_add_i32 s1, s2, s1
	v_lshl_or_b32 v4, s14, 6, v11
	s_lshl_b64 s[0:1], s[0:1], 3
	s_delay_alu instid0(SALU_CYCLE_1) | instskip(SKIP_2) | instid1(SALU_CYCLE_1)
	s_add_u32 s0, s8, s0
	s_addc_u32 s4, s9, s1
	s_lshl_b64 s[2:3], s[10:11], 3
	s_add_u32 s1, s0, s2
	v_cmp_gt_i32_e64 s0, s41, v4
	s_addc_u32 s2, s4, s3
	s_and_b32 vcc_lo, exec_lo, s33
	s_mov_b32 s3, -1
	s_cbranch_vccz .LBB0_44
; %bb.39:
	s_and_saveexec_b32 s3, s0
	s_cbranch_execz .LBB0_43
; %bb.40:
	v_ashrrev_i32_e32 v0, 31, v4
	v_mul_lo_u32 v2, v4, s37
	v_cmp_neq_f32_e64 s0, s6, 0
	v_cmp_neq_f32_e64 s4, s7, 0
	s_delay_alu instid0(VALU_DEP_4) | instskip(SKIP_1) | instid1(VALU_DEP_3)
	v_mul_lo_u32 v3, v0, s36
	v_mad_u64_u32 v[0:1], null, v4, s36, 0
	s_or_b32 s0, s0, s4
	s_delay_alu instid0(SALU_CYCLE_1) | instskip(NEXT) | instid1(VALU_DEP_1)
	s_and_not1_b32 vcc_lo, exec_lo, s0
	v_add3_u32 v1, v1, v2, v3
	v_dual_mov_b32 v3, 0 :: v_dual_mov_b32 v2, 0
	s_delay_alu instid0(VALU_DEP_2)
	v_lshlrev_b64 v[0:1], 3, v[0:1]
	s_cbranch_vccnz .LBB0_42
; %bb.41:
	s_delay_alu instid0(VALU_DEP_1) | instskip(NEXT) | instid1(VALU_DEP_2)
	v_add_co_u32 v2, vcc_lo, s1, v0
	v_add_co_ci_u32_e32 v3, vcc_lo, s2, v1, vcc_lo
	global_load_b64 v[5:6], v[2:3], off
	s_waitcnt vmcnt(0)
	v_mul_f32_e32 v3, s6, v6
	s_delay_alu instid0(VALU_DEP_1) | instskip(NEXT) | instid1(VALU_DEP_1)
	v_dual_mul_f32 v2, s7, v6 :: v_dual_fmac_f32 v3, s7, v5
	v_fma_f32 v2, s6, v5, -v2
.LBB0_42:
	s_delay_alu instid0(VALU_DEP_1) | instskip(NEXT) | instid1(VALU_DEP_2)
	v_add_co_u32 v0, vcc_lo, s1, v0
	v_add_co_ci_u32_e32 v1, vcc_lo, s2, v1, vcc_lo
	global_store_b64 v[0:1], v[2:3], off
.LBB0_43:
	s_or_b32 exec_lo, exec_lo, s3
	s_mov_b32 s3, 0
.LBB0_44:
	s_delay_alu instid0(SALU_CYCLE_1)
	s_and_not1_b32 vcc_lo, exec_lo, s3
	s_cbranch_vccnz .LBB0_49
; %bb.45:
	v_lshlrev_b32_e32 v13, 3, v11
	v_cmp_gt_i32_e32 vcc_lo, s41, v4
	ds_load_2addr_stride64_b64 v[0:3], v13 offset1:1
	ds_load_2addr_stride64_b64 v[5:8], v13 offset0:2 offset1:3
	ds_load_2addr_stride64_b64 v[9:12], v13 offset0:4 offset1:5
	s_waitcnt lgkmcnt(2)
	v_add_f32_e32 v0, v0, v2
	s_waitcnt lgkmcnt(1)
	s_delay_alu instid0(VALU_DEP_1) | instskip(SKIP_3) | instid1(VALU_DEP_1)
	v_dual_add_f32 v14, v1, v3 :: v_dual_add_f32 v5, v0, v5
	ds_load_2addr_stride64_b64 v[0:3], v13 offset0:6 offset1:7
	v_dual_add_f32 v6, v14, v6 :: v_dual_add_f32 v5, v5, v7
	s_waitcnt lgkmcnt(1)
	v_dual_add_f32 v14, v6, v8 :: v_dual_add_f32 v9, v5, v9
	ds_load_2addr_stride64_b64 v[5:8], v13 offset0:8 offset1:9
	v_dual_add_f32 v10, v14, v10 :: v_dual_add_f32 v9, v9, v11
	s_waitcnt lgkmcnt(1)
	s_delay_alu instid0(VALU_DEP_1) | instskip(NEXT) | instid1(VALU_DEP_1)
	v_add_f32_e32 v0, v9, v0
	v_add_f32_e32 v0, v0, v2
	s_delay_alu instid0(VALU_DEP_3) | instskip(SKIP_4) | instid1(VALU_DEP_1)
	v_add_f32_e32 v14, v10, v12
	ds_load_2addr_stride64_b64 v[9:12], v13 offset0:10 offset1:11
	s_waitcnt lgkmcnt(1)
	v_add_f32_e32 v5, v0, v5
	v_add_f32_e32 v1, v14, v1
	;; [unrolled: 1-line block ×3, first 2 shown]
	ds_load_2addr_stride64_b64 v[0:3], v13 offset0:12 offset1:13
	v_add_f32_e32 v6, v14, v6
	v_add_f32_e32 v14, v5, v7
	s_waitcnt lgkmcnt(1)
	s_delay_alu instid0(VALU_DEP_1) | instskip(NEXT) | instid1(VALU_DEP_1)
	v_add_f32_e32 v9, v14, v9
	v_add_f32_e32 v9, v9, v11
	;; [unrolled: 1-line block ×3, first 2 shown]
	ds_load_2addr_stride64_b64 v[5:8], v13 offset0:14 offset1:15
	s_waitcnt lgkmcnt(1)
	v_add_f32_e32 v0, v9, v0
	v_add_f32_e32 v10, v15, v10
	s_delay_alu instid0(VALU_DEP_1) | instskip(NEXT) | instid1(VALU_DEP_1)
	v_add_f32_e32 v10, v10, v12
	v_add_f32_e32 v1, v10, v1
	s_delay_alu instid0(VALU_DEP_1) | instskip(SKIP_1) | instid1(VALU_DEP_1)
	v_add_f32_e32 v1, v1, v3
	s_waitcnt lgkmcnt(0)
	v_add_f32_e32 v1, v1, v6
	s_delay_alu instid0(VALU_DEP_1) | instskip(NEXT) | instid1(VALU_DEP_1)
	v_dual_add_f32 v0, v0, v2 :: v_dual_add_f32 v1, v1, v8
	v_add_f32_e32 v0, v0, v5
	s_delay_alu instid0(VALU_DEP_1)
	v_add_f32_e32 v0, v0, v7
	ds_store_b64 v13, v[0:1]
	s_and_b32 exec_lo, exec_lo, vcc_lo
	s_cbranch_execz .LBB0_49
; %bb.46:
	v_ashrrev_i32_e32 v2, 31, v4
	v_mul_lo_u32 v3, v4, s37
	v_mad_u64_u32 v[5:6], null, v4, s36, 0
	v_mul_f32_e32 v4, s13, v1
	s_delay_alu instid0(VALU_DEP_4) | instskip(SKIP_2) | instid1(VALU_DEP_1)
	v_mul_lo_u32 v2, v2, s36
	v_cmp_neq_f32_e64 s0, s6, 0
	v_cmp_neq_f32_e64 s3, s7, 0
	s_or_b32 s0, s0, s3
	s_delay_alu instid0(VALU_DEP_3) | instskip(SKIP_3) | instid1(VALU_DEP_3)
	v_add3_u32 v6, v6, v3, v2
	v_mul_f32_e32 v2, s12, v1
	v_fma_f32 v1, v0, s12, -v4
	s_and_not1_b32 vcc_lo, exec_lo, s0
	v_lshlrev_b64 v[3:4], 3, v[5:6]
	s_delay_alu instid0(VALU_DEP_3)
	v_fmac_f32_e32 v2, s13, v0
	s_cbranch_vccnz .LBB0_48
; %bb.47:
	s_delay_alu instid0(VALU_DEP_2) | instskip(NEXT) | instid1(VALU_DEP_3)
	v_add_co_u32 v5, vcc_lo, s1, v3
	v_add_co_ci_u32_e32 v6, vcc_lo, s2, v4, vcc_lo
	global_load_b64 v[5:6], v[5:6], off
	s_waitcnt vmcnt(0)
	v_mul_f32_e32 v0, s7, v6
	s_delay_alu instid0(VALU_DEP_1) | instskip(NEXT) | instid1(VALU_DEP_1)
	v_fma_f32 v0, s6, v5, -v0
	v_dual_mul_f32 v6, s6, v6 :: v_dual_add_f32 v1, v1, v0
	s_delay_alu instid0(VALU_DEP_1) | instskip(NEXT) | instid1(VALU_DEP_1)
	v_fmac_f32_e32 v6, s7, v5
	v_add_f32_e32 v2, v2, v6
.LBB0_48:
	s_delay_alu instid0(VALU_DEP_2) | instskip(NEXT) | instid1(VALU_DEP_3)
	v_add_co_u32 v3, vcc_lo, s1, v3
	v_add_co_ci_u32_e32 v4, vcc_lo, s2, v4, vcc_lo
	global_store_b64 v[3:4], v[1:2], off
.LBB0_49:
	s_nop 0
	s_sendmsg sendmsg(MSG_DEALLOC_VGPRS)
	s_endpgm
	.section	.rodata,"a",@progbits
	.p2align	6, 0x0
	.amdhsa_kernel _ZL20rocblas_hbmvn_kernelILi64ELi16EPK19rocblas_complex_numIfES3_PS1_EvbiiT1_T2_lllS6_lllS5_T3_llli
		.amdhsa_group_segment_fixed_size 8192
		.amdhsa_private_segment_fixed_size 0
		.amdhsa_kernarg_size 392
		.amdhsa_user_sgpr_count 14
		.amdhsa_user_sgpr_dispatch_ptr 0
		.amdhsa_user_sgpr_queue_ptr 0
		.amdhsa_user_sgpr_kernarg_segment_ptr 1
		.amdhsa_user_sgpr_dispatch_id 0
		.amdhsa_user_sgpr_private_segment_size 0
		.amdhsa_wavefront_size32 1
		.amdhsa_uses_dynamic_stack 0
		.amdhsa_enable_private_segment 0
		.amdhsa_system_sgpr_workgroup_id_x 1
		.amdhsa_system_sgpr_workgroup_id_y 0
		.amdhsa_system_sgpr_workgroup_id_z 1
		.amdhsa_system_sgpr_workgroup_info 0
		.amdhsa_system_vgpr_workitem_id 1
		.amdhsa_next_free_vgpr 23
		.amdhsa_next_free_sgpr 48
		.amdhsa_reserve_vcc 1
		.amdhsa_float_round_mode_32 0
		.amdhsa_float_round_mode_16_64 0
		.amdhsa_float_denorm_mode_32 3
		.amdhsa_float_denorm_mode_16_64 3
		.amdhsa_dx10_clamp 1
		.amdhsa_ieee_mode 1
		.amdhsa_fp16_overflow 0
		.amdhsa_workgroup_processor_mode 1
		.amdhsa_memory_ordered 1
		.amdhsa_forward_progress 0
		.amdhsa_shared_vgpr_count 0
		.amdhsa_exception_fp_ieee_invalid_op 0
		.amdhsa_exception_fp_denorm_src 0
		.amdhsa_exception_fp_ieee_div_zero 0
		.amdhsa_exception_fp_ieee_overflow 0
		.amdhsa_exception_fp_ieee_underflow 0
		.amdhsa_exception_fp_ieee_inexact 0
		.amdhsa_exception_int_div_zero 0
	.end_amdhsa_kernel
	.section	.text._ZL20rocblas_hbmvn_kernelILi64ELi16EPK19rocblas_complex_numIfES3_PS1_EvbiiT1_T2_lllS6_lllS5_T3_llli,"axG",@progbits,_ZL20rocblas_hbmvn_kernelILi64ELi16EPK19rocblas_complex_numIfES3_PS1_EvbiiT1_T2_lllS6_lllS5_T3_llli,comdat
.Lfunc_end0:
	.size	_ZL20rocblas_hbmvn_kernelILi64ELi16EPK19rocblas_complex_numIfES3_PS1_EvbiiT1_T2_lllS6_lllS5_T3_llli, .Lfunc_end0-_ZL20rocblas_hbmvn_kernelILi64ELi16EPK19rocblas_complex_numIfES3_PS1_EvbiiT1_T2_lllS6_lllS5_T3_llli
                                        ; -- End function
	.section	.AMDGPU.csdata,"",@progbits
; Kernel info:
; codeLenInByte = 2316
; NumSgprs: 50
; NumVgprs: 23
; ScratchSize: 0
; MemoryBound: 0
; FloatMode: 240
; IeeeMode: 1
; LDSByteSize: 8192 bytes/workgroup (compile time only)
; SGPRBlocks: 6
; VGPRBlocks: 2
; NumSGPRsForWavesPerEU: 50
; NumVGPRsForWavesPerEU: 23
; Occupancy: 16
; WaveLimiterHint : 0
; COMPUTE_PGM_RSRC2:SCRATCH_EN: 0
; COMPUTE_PGM_RSRC2:USER_SGPR: 14
; COMPUTE_PGM_RSRC2:TRAP_HANDLER: 0
; COMPUTE_PGM_RSRC2:TGID_X_EN: 1
; COMPUTE_PGM_RSRC2:TGID_Y_EN: 0
; COMPUTE_PGM_RSRC2:TGID_Z_EN: 1
; COMPUTE_PGM_RSRC2:TIDIG_COMP_CNT: 1
	.section	.text._ZL20rocblas_hbmvn_kernelILi64ELi16E19rocblas_complex_numIfEPKS1_PS1_EvbiiT1_T2_lllS6_lllS5_T3_llli,"axG",@progbits,_ZL20rocblas_hbmvn_kernelILi64ELi16E19rocblas_complex_numIfEPKS1_PS1_EvbiiT1_T2_lllS6_lllS5_T3_llli,comdat
	.globl	_ZL20rocblas_hbmvn_kernelILi64ELi16E19rocblas_complex_numIfEPKS1_PS1_EvbiiT1_T2_lllS6_lllS5_T3_llli ; -- Begin function _ZL20rocblas_hbmvn_kernelILi64ELi16E19rocblas_complex_numIfEPKS1_PS1_EvbiiT1_T2_lllS6_lllS5_T3_llli
	.p2align	8
	.type	_ZL20rocblas_hbmvn_kernelILi64ELi16E19rocblas_complex_numIfEPKS1_PS1_EvbiiT1_T2_lllS6_lllS5_T3_llli,@function
_ZL20rocblas_hbmvn_kernelILi64ELi16E19rocblas_complex_numIfEPKS1_PS1_EvbiiT1_T2_lllS6_lllS5_T3_llli: ; @_ZL20rocblas_hbmvn_kernelILi64ELi16E19rocblas_complex_numIfEPKS1_PS1_EvbiiT1_T2_lllS6_lllS5_T3_llli
; %bb.0:
	s_load_b64 s[2:3], s[0:1], 0x94
	s_waitcnt lgkmcnt(0)
	s_lshr_b32 s4, s2, 16
	s_and_b32 s2, s2, 0xffff
	s_and_b32 s3, s3, 0xffff
	s_mul_i32 s4, s4, s2
	s_delay_alu instid0(SALU_CYCLE_1) | instskip(NEXT) | instid1(SALU_CYCLE_1)
	s_mul_i32 s4, s4, s3
	s_cmpk_lg_i32 s4, 0x400
	s_cbranch_scc1 .LBB1_49
; %bb.1:
	s_clause 0x2
	s_load_b128 s[8:11], s[0:1], 0x0
	s_load_b32 s33, s[0:1], 0x10
	s_load_b64 s[12:13], s[0:1], 0x58
	s_waitcnt lgkmcnt(0)
	v_cmp_neq_f32_e64 s3, s11, 0
	v_cmp_neq_f32_e64 s4, s33, 0
	s_delay_alu instid0(VALU_DEP_1) | instskip(NEXT) | instid1(SALU_CYCLE_1)
	s_or_b32 s3, s3, s4
	s_and_b32 vcc_lo, exec_lo, s3
	s_mov_b32 s3, -1
	s_cbranch_vccnz .LBB1_3
; %bb.2:
	v_cmp_neq_f32_e64 s3, s12, 1.0
	v_cmp_neq_f32_e64 s4, s13, 0
	s_delay_alu instid0(VALU_DEP_1)
	s_or_b32 s3, s3, s4
.LBB1_3:
	s_delay_alu instid0(SALU_CYCLE_1)
	s_and_not1_b32 vcc_lo, exec_lo, s3
	s_cbranch_vccnz .LBB1_49
; %bb.4:
	v_and_b32_e32 v1, 0x3ff, v0
	s_or_b32 s3, s11, s33
	v_bfe_u32 v0, v0, 10, 10
	s_bitset0_b32 s3, 31
	s_mov_b32 s5, 0
	s_cmp_eq_u32 s3, 0
	s_delay_alu instid0(VALU_DEP_1) | instskip(SKIP_1) | instid1(SALU_CYCLE_1)
	v_mad_u32_u24 v11, v0, s2, v1
	s_cselect_b32 s34, -1, 0
	s_and_b32 vcc_lo, exec_lo, s34
	s_cbranch_vccnz .LBB1_37
; %bb.5:
	s_delay_alu instid0(VALU_DEP_1) | instskip(SKIP_2) | instid1(VALU_DEP_2)
	v_lshrrev_b32_e32 v12, 6, v11
	v_dual_mov_b32 v5, 0 :: v_dual_mov_b32 v4, 0
	s_mov_b32 s35, exec_lo
	v_cmpx_gt_i32_e64 s9, v12
	s_cbranch_execz .LBB1_36
; %bb.6:
	s_load_b512 s[16:31], s[0:1], 0x18
	v_and_b32_e32 v17, 63, v11
	s_lshl_b32 s4, s14, 6
	s_delay_alu instid0(VALU_DEP_1) | instid1(SALU_CYCLE_1)
	v_or_b32_e32 v0, s4, v17
	s_delay_alu instid0(VALU_DEP_1)
	v_ashrrev_i32_e32 v1, 31, v0
	v_cmp_gt_i32_e64 s2, s9, v0
	v_sub_nc_u32_e32 v19, v0, v12
	s_waitcnt lgkmcnt(0)
	s_mul_i32 s3, s15, s23
	s_mul_hi_u32 s23, s15, s22
	s_mul_i32 s22, s15, s22
	s_add_i32 s23, s23, s3
	s_lshl_b64 s[6:7], s[18:19], 3
	s_mul_i32 s19, s31, s15
	s_mul_hi_u32 s36, s30, s15
	s_mul_i32 s18, s30, s15
	s_lshl_b64 s[30:31], s[22:23], 3
	v_mul_lo_u32 v8, v1, s20
	s_add_u32 s23, s16, s30
	s_addc_u32 s37, s17, s31
	s_add_u32 s38, s23, s6
	v_mul_lo_u32 v9, v0, s21
	v_mad_u64_u32 v[2:3], null, v0, s20, 0
	v_mad_u64_u32 v[4:5], null, s28, v12, 0
	v_mad_u64_u32 v[6:7], null, s20, v12, 0
	s_addc_u32 s39, s37, s7
	s_bitcmp1_b32 s8, 0
	s_delay_alu instid0(VALU_DEP_3) | instskip(SKIP_1) | instid1(SALU_CYCLE_1)
	v_add3_u32 v3, v3, v9, v8
	s_cselect_b32 s3, -1, 0
	s_and_b32 s8, s3, exec_lo
	s_cselect_b32 s40, s10, 0
	s_xor_b32 s8, s3, -1
	s_cmp_eq_u32 s10, 0
	v_mad_u64_u32 v[8:9], null, s29, v12, v[5:6]
	s_cselect_b32 s22, -1, 0
	s_add_i32 s19, s36, s19
	s_lshl_b64 s[26:27], s[26:27], 3
	s_or_b32 s22, s22, s8
	s_lshl_b64 s[18:19], s[18:19], 3
	s_add_u32 s24, s24, s26
	s_addc_u32 s25, s25, s27
	s_add_u32 s26, s24, s18
	s_addc_u32 s27, s25, s19
	s_lshl_b64 s[24:25], s[20:21], 3
	v_mov_b32_e32 v5, v8
	s_lshl_b64 s[18:19], s[28:29], 7
	v_mad_u64_u32 v[8:9], null, s21, v12, v[7:8]
	s_lshl_b64 s[20:21], s[20:21], 7
	s_add_u32 s24, s24, -8
	v_lshlrev_b64 v[2:3], 3, v[2:3]
	v_mad_u64_u32 v[9:10], null, v12, s24, s[30:31]
	v_lshlrev_b64 v[4:5], 3, v[4:5]
	s_delay_alu instid0(VALU_DEP_4) | instskip(SKIP_1) | instid1(VALU_DEP_4)
	v_mov_b32_e32 v7, v8
	s_addc_u32 s24, s25, -1
	v_add_co_u32 v13, vcc_lo, s38, v2
	v_add_co_ci_u32_e32 v14, vcc_lo, s39, v3, vcc_lo
	s_delay_alu instid0(VALU_DEP_4) | instskip(SKIP_4) | instid1(VALU_DEP_4)
	v_add_co_u32 v3, vcc_lo, s26, v4
	v_mov_b32_e32 v2, v10
	v_add_co_ci_u32_e32 v8, vcc_lo, s27, v5, vcc_lo
	v_lshlrev_b64 v[4:5], 3, v[6:7]
	v_sub_nc_u32_e32 v10, s40, v17
	v_mad_u64_u32 v[6:7], null, v12, s24, v[2:3]
	v_add_co_u32 v2, vcc_lo, v3, 4
	v_add_co_ci_u32_e32 v3, vcc_lo, 0, v8, vcc_lo
	v_lshlrev_b64 v[7:8], 3, v[0:1]
	v_add_co_u32 v1, vcc_lo, s23, v4
	v_mov_b32_e32 v4, v6
	v_add_co_ci_u32_e32 v16, vcc_lo, s37, v5, vcc_lo
	s_delay_alu instid0(VALU_DEP_4) | instskip(SKIP_1) | instid1(VALU_DEP_4)
	v_add_co_u32 v7, vcc_lo, v9, v7
	v_add3_u32 v5, s10, s4, v17
	v_add_co_ci_u32_e32 v4, vcc_lo, v4, v8, vcc_lo
	v_mov_b32_e32 v8, 0
	s_delay_alu instid0(VALU_DEP_4)
	v_add_co_u32 v17, vcc_lo, s16, v7
	v_subrev_nc_u32_e32 v15, s4, v10
	v_sub_nc_u32_e32 v6, v5, v12
	v_add_co_ci_u32_e32 v18, vcc_lo, s17, v4, vcc_lo
	v_dual_mov_b32 v5, 0 :: v_dual_mov_b32 v4, 0
	s_add_u32 s16, s20, 0xffffff80
	s_addc_u32 s17, s21, -1
	s_branch .LBB1_10
.LBB1_7:                                ;   in Loop: Header=BB1_10 Depth=1
	s_or_b32 exec_lo, exec_lo, s4
.LBB1_8:                                ;   in Loop: Header=BB1_10 Depth=1
	s_delay_alu instid0(SALU_CYCLE_1)
	s_or_b32 exec_lo, exec_lo, s24
.LBB1_9:                                ;   in Loop: Header=BB1_10 Depth=1
	s_delay_alu instid0(SALU_CYCLE_1)
	s_or_b32 exec_lo, exec_lo, s23
	v_add_co_u32 v2, vcc_lo, v2, s18
	v_add_nc_u32_e32 v12, 16, v12
	v_add_co_ci_u32_e32 v3, vcc_lo, s19, v3, vcc_lo
	v_add_co_u32 v1, vcc_lo, v1, s20
	v_add_co_ci_u32_e32 v16, vcc_lo, s21, v16, vcc_lo
	s_delay_alu instid0(VALU_DEP_4)
	v_cmp_le_i32_e32 vcc_lo, s9, v12
	v_add_co_u32 v17, s4, v17, s16
	v_add_nc_u32_e32 v6, -16, v6
	v_add_co_ci_u32_e64 v18, s4, s17, v18, s4
	v_add_nc_u32_e32 v19, -16, v19
	s_or_b32 s5, vcc_lo, s5
	s_delay_alu instid0(SALU_CYCLE_1)
	s_and_not1_b32 exec_lo, exec_lo, s5
	s_cbranch_execz .LBB1_35
.LBB1_10:                               ; =>This Inner Loop Header: Depth=1
	s_and_saveexec_b32 s23, s2
	s_cbranch_execz .LBB1_9
; %bb.11:                               ;   in Loop: Header=BB1_10 Depth=1
	v_cmp_lt_i32_e32 vcc_lo, v12, v0
	v_cmp_gt_i32_e64 s4, v12, v0
	s_or_b32 s24, vcc_lo, s8
	s_delay_alu instid0(VALU_DEP_1) | instskip(NEXT) | instid1(SALU_CYCLE_1)
	s_or_b32 s4, s4, s3
	s_and_b32 s4, s24, s4
	s_delay_alu instid0(SALU_CYCLE_1) | instskip(NEXT) | instid1(SALU_CYCLE_1)
	s_xor_b32 s4, s4, -1
	s_and_saveexec_b32 s24, s4
	s_delay_alu instid0(SALU_CYCLE_1)
	s_xor_b32 s24, exec_lo, s24
	s_cbranch_execz .LBB1_32
; %bb.12:                               ;   in Loop: Header=BB1_10 Depth=1
	v_add_nc_u32_e32 v7, s10, v19
	s_delay_alu instid0(VALU_DEP_1) | instskip(NEXT) | instid1(VALU_DEP_1)
	v_cndmask_b32_e64 v7, v19, v7, s3
	v_cmp_le_i32_e32 vcc_lo, s10, v7
	v_cmp_gt_i32_e64 s4, 1, v7
	s_delay_alu instid0(VALU_DEP_1) | instskip(NEXT) | instid1(SALU_CYCLE_1)
	s_or_b32 s4, vcc_lo, s4
	s_and_saveexec_b32 s25, s4
	s_delay_alu instid0(SALU_CYCLE_1)
	s_xor_b32 s4, exec_lo, s25
	s_cbranch_execz .LBB1_29
; %bb.13:                               ;   in Loop: Header=BB1_10 Depth=1
	s_mov_b32 s25, exec_lo
	v_cmpx_ne_u32_e32 0, v7
	s_xor_b32 s25, exec_lo, s25
	s_cbranch_execz .LBB1_22
; %bb.14:                               ;   in Loop: Header=BB1_10 Depth=1
	s_mov_b32 s26, exec_lo
	v_cmpx_eq_u32_e64 s10, v7
	s_cbranch_execz .LBB1_21
; %bb.15:                               ;   in Loop: Header=BB1_10 Depth=1
	s_and_b32 vcc_lo, exec_lo, s8
	s_cbranch_vccz .LBB1_17
; %bb.16:                               ;   in Loop: Header=BB1_10 Depth=1
	v_add_co_u32 v9, vcc_lo, v17, s6
	v_add_co_ci_u32_e32 v10, vcc_lo, s7, v18, vcc_lo
	s_mov_b32 s27, 0
	global_load_b64 v[20:21], v[2:3], off offset:-4
	global_load_b64 v[9:10], v[9:10], off
	s_waitcnt vmcnt(0)
	v_mul_f32_e32 v7, v21, v10
	v_mul_f32_e32 v10, v20, v10
	s_delay_alu instid0(VALU_DEP_2) | instskip(NEXT) | instid1(VALU_DEP_1)
	v_fma_f32 v7, v20, v9, -v7
	v_dual_fmac_f32 v10, v21, v9 :: v_dual_add_f32 v9, v4, v7
	s_delay_alu instid0(VALU_DEP_1)
	v_add_f32_e32 v7, v5, v10
	s_branch .LBB1_18
.LBB1_17:                               ;   in Loop: Header=BB1_10 Depth=1
	s_mov_b32 s27, -1
                                        ; implicit-def: $vgpr7
                                        ; implicit-def: $vgpr9
.LBB1_18:                               ;   in Loop: Header=BB1_10 Depth=1
	s_delay_alu instid0(SALU_CYCLE_1)
	s_and_not1_b32 vcc_lo, exec_lo, s27
	s_cbranch_vccnz .LBB1_20
; %bb.19:                               ;   in Loop: Header=BB1_10 Depth=1
	v_ashrrev_i32_e32 v7, 31, v6
	s_delay_alu instid0(VALU_DEP_1) | instskip(NEXT) | instid1(VALU_DEP_1)
	v_lshlrev_b64 v[9:10], 3, v[6:7]
	v_add_co_u32 v7, vcc_lo, v1, v9
	s_delay_alu instid0(VALU_DEP_2) | instskip(NEXT) | instid1(VALU_DEP_2)
	v_add_co_ci_u32_e32 v10, vcc_lo, v16, v10, vcc_lo
	v_add_co_u32 v9, vcc_lo, v7, s6
	s_delay_alu instid0(VALU_DEP_2) | instskip(SKIP_4) | instid1(VALU_DEP_1)
	v_add_co_ci_u32_e32 v10, vcc_lo, s7, v10, vcc_lo
	global_load_b64 v[20:21], v[2:3], off offset:-4
	global_load_b32 v7, v[9:10], off
	s_waitcnt vmcnt(0)
	v_fmac_f32_e32 v5, v7, v21
	v_dual_fmac_f32 v4, v7, v20 :: v_dual_mov_b32 v7, v5
	s_delay_alu instid0(VALU_DEP_1)
	v_mov_b32_e32 v9, v4
.LBB1_20:                               ;   in Loop: Header=BB1_10 Depth=1
	s_delay_alu instid0(VALU_DEP_1)
	v_dual_mov_b32 v5, v7 :: v_dual_mov_b32 v4, v9
.LBB1_21:                               ;   in Loop: Header=BB1_10 Depth=1
	s_or_b32 exec_lo, exec_lo, s26
.LBB1_22:                               ;   in Loop: Header=BB1_10 Depth=1
	s_and_not1_saveexec_b32 s25, s25
	s_cbranch_execz .LBB1_28
; %bb.23:                               ;   in Loop: Header=BB1_10 Depth=1
	v_add_co_u32 v9, vcc_lo, v1, s6
	v_add_co_ci_u32_e32 v10, vcc_lo, s7, v16, vcc_lo
	s_and_not1_b32 vcc_lo, exec_lo, s22
	s_cbranch_vccnz .LBB1_25
; %bb.24:                               ;   in Loop: Header=BB1_10 Depth=1
	global_load_b32 v22, v[9:10], off
	global_load_b64 v[20:21], v[2:3], off offset:-4
	s_waitcnt vmcnt(0)
	v_fma_f32 v7, v22, v20, v4
	v_fma_f32 v20, v22, v21, v5
	s_cbranch_execz .LBB1_26
	s_branch .LBB1_27
.LBB1_25:                               ;   in Loop: Header=BB1_10 Depth=1
                                        ; implicit-def: $vgpr20
                                        ; implicit-def: $vgpr7
.LBB1_26:                               ;   in Loop: Header=BB1_10 Depth=1
	global_load_b64 v[9:10], v[9:10], off
	global_load_b64 v[20:21], v[2:3], off offset:-4
	s_waitcnt vmcnt(0)
	v_mul_f32_e32 v7, v21, v10
	v_mul_f32_e32 v10, v20, v10
	s_delay_alu instid0(VALU_DEP_2) | instskip(NEXT) | instid1(VALU_DEP_1)
	v_fma_f32 v7, v20, v9, -v7
	v_dual_fmac_f32 v10, v21, v9 :: v_dual_add_f32 v7, v4, v7
	s_delay_alu instid0(VALU_DEP_1)
	v_add_f32_e32 v20, v5, v10
.LBB1_27:                               ;   in Loop: Header=BB1_10 Depth=1
	s_delay_alu instid0(VALU_DEP_1)
	v_dual_mov_b32 v5, v20 :: v_dual_mov_b32 v4, v7
.LBB1_28:                               ;   in Loop: Header=BB1_10 Depth=1
	s_or_b32 exec_lo, exec_lo, s25
.LBB1_29:                               ;   in Loop: Header=BB1_10 Depth=1
	s_and_not1_saveexec_b32 s4, s4
	s_cbranch_execz .LBB1_31
; %bb.30:                               ;   in Loop: Header=BB1_10 Depth=1
	v_lshlrev_b64 v[9:10], 3, v[7:8]
	v_add_co_u32 v7, vcc_lo, v1, s6
	v_add_co_ci_u32_e32 v20, vcc_lo, s7, v16, vcc_lo
	s_delay_alu instid0(VALU_DEP_2) | instskip(NEXT) | instid1(VALU_DEP_2)
	v_add_co_u32 v9, vcc_lo, v7, v9
	v_add_co_ci_u32_e32 v10, vcc_lo, v20, v10, vcc_lo
	global_load_b64 v[20:21], v[2:3], off offset:-4
	global_load_b64 v[9:10], v[9:10], off
	s_waitcnt vmcnt(0)
	v_mul_f32_e32 v7, v21, v10
	v_mul_f32_e32 v10, v20, v10
	s_delay_alu instid0(VALU_DEP_2) | instskip(NEXT) | instid1(VALU_DEP_2)
	v_fma_f32 v7, v20, v9, -v7
	v_fmac_f32_e32 v10, v21, v9
	s_delay_alu instid0(VALU_DEP_1)
	v_dual_add_f32 v4, v4, v7 :: v_dual_add_f32 v5, v5, v10
.LBB1_31:                               ;   in Loop: Header=BB1_10 Depth=1
	s_or_b32 exec_lo, exec_lo, s4
.LBB1_32:                               ;   in Loop: Header=BB1_10 Depth=1
	s_and_not1_saveexec_b32 s24, s24
	s_cbranch_execz .LBB1_8
; %bb.33:                               ;   in Loop: Header=BB1_10 Depth=1
	v_add_nc_u32_e32 v7, v15, v12
	s_delay_alu instid0(VALU_DEP_1) | instskip(SKIP_1) | instid1(VALU_DEP_1)
	v_cmp_ge_i32_e32 vcc_lo, s10, v7
	v_cmp_lt_i32_e64 s4, -1, v7
	s_and_b32 s25, vcc_lo, s4
	s_delay_alu instid0(SALU_CYCLE_1)
	s_and_saveexec_b32 s4, s25
	s_cbranch_execz .LBB1_7
; %bb.34:                               ;   in Loop: Header=BB1_10 Depth=1
	v_lshlrev_b64 v[9:10], 3, v[7:8]
	s_delay_alu instid0(VALU_DEP_1) | instskip(NEXT) | instid1(VALU_DEP_2)
	v_add_co_u32 v9, vcc_lo, v13, v9
	v_add_co_ci_u32_e32 v10, vcc_lo, v14, v10, vcc_lo
	global_load_b64 v[20:21], v[2:3], off offset:-4
	global_load_b64 v[9:10], v[9:10], off
	s_waitcnt vmcnt(0)
	v_mul_f32_e32 v7, v10, v21
	v_mul_f32_e32 v10, v10, v20
	s_delay_alu instid0(VALU_DEP_2) | instskip(NEXT) | instid1(VALU_DEP_2)
	v_fmac_f32_e32 v7, v9, v20
	v_fma_f32 v9, v9, v21, -v10
	s_delay_alu instid0(VALU_DEP_1)
	v_dual_add_f32 v4, v4, v7 :: v_dual_add_f32 v5, v5, v9
	s_branch .LBB1_7
.LBB1_35:
	s_or_b32 exec_lo, exec_lo, s5
.LBB1_36:
	s_delay_alu instid0(SALU_CYCLE_1)
	s_or_b32 exec_lo, exec_lo, s35
	v_lshlrev_b32_e32 v0, 3, v11
	ds_store_b64 v0, v[4:5]
	s_waitcnt lgkmcnt(0)
	s_barrier
	buffer_gl0_inv
.LBB1_37:
	s_mov_b32 s2, exec_lo
	v_cmpx_gt_u32_e32 64, v11
	s_cbranch_execz .LBB1_49
; %bb.38:
	s_load_b256 s[0:7], s[0:1], 0x60
	v_lshl_or_b32 v4, s14, 6, v11
	s_waitcnt lgkmcnt(0)
	s_mul_i32 s7, s15, s7
	s_mul_hi_u32 s8, s15, s6
	s_mul_i32 s6, s15, s6
	s_add_i32 s7, s8, s7
	s_delay_alu instid0(SALU_CYCLE_1) | instskip(NEXT) | instid1(SALU_CYCLE_1)
	s_lshl_b64 s[6:7], s[6:7], 3
	s_add_u32 s0, s0, s6
	s_addc_u32 s6, s1, s7
	s_lshl_b64 s[2:3], s[2:3], 3
	s_delay_alu instid0(SALU_CYCLE_1)
	s_add_u32 s1, s0, s2
	v_cmp_gt_i32_e64 s0, s9, v4
	s_addc_u32 s2, s6, s3
	s_and_b32 vcc_lo, exec_lo, s34
	s_mov_b32 s3, -1
	s_cbranch_vccz .LBB1_44
; %bb.39:
	s_and_saveexec_b32 s3, s0
	s_cbranch_execz .LBB1_43
; %bb.40:
	v_ashrrev_i32_e32 v0, 31, v4
	v_mul_lo_u32 v2, v4, s5
	v_cmp_neq_f32_e64 s0, s12, 0
	v_cmp_neq_f32_e64 s6, s13, 0
	s_delay_alu instid0(VALU_DEP_4) | instskip(SKIP_1) | instid1(VALU_DEP_3)
	v_mul_lo_u32 v3, v0, s4
	v_mad_u64_u32 v[0:1], null, v4, s4, 0
	s_or_b32 s0, s0, s6
	s_delay_alu instid0(SALU_CYCLE_1) | instskip(NEXT) | instid1(VALU_DEP_1)
	s_and_not1_b32 vcc_lo, exec_lo, s0
	v_add3_u32 v1, v1, v2, v3
	v_dual_mov_b32 v3, 0 :: v_dual_mov_b32 v2, 0
	s_delay_alu instid0(VALU_DEP_2)
	v_lshlrev_b64 v[0:1], 3, v[0:1]
	s_cbranch_vccnz .LBB1_42
; %bb.41:
	s_delay_alu instid0(VALU_DEP_1) | instskip(NEXT) | instid1(VALU_DEP_2)
	v_add_co_u32 v2, vcc_lo, s1, v0
	v_add_co_ci_u32_e32 v3, vcc_lo, s2, v1, vcc_lo
	global_load_b64 v[5:6], v[2:3], off
	s_waitcnt vmcnt(0)
	v_mul_f32_e32 v3, s12, v6
	s_delay_alu instid0(VALU_DEP_1) | instskip(NEXT) | instid1(VALU_DEP_1)
	v_dual_mul_f32 v2, s13, v6 :: v_dual_fmac_f32 v3, s13, v5
	v_fma_f32 v2, s12, v5, -v2
.LBB1_42:
	s_delay_alu instid0(VALU_DEP_1) | instskip(NEXT) | instid1(VALU_DEP_2)
	v_add_co_u32 v0, vcc_lo, s1, v0
	v_add_co_ci_u32_e32 v1, vcc_lo, s2, v1, vcc_lo
	global_store_b64 v[0:1], v[2:3], off
.LBB1_43:
	s_or_b32 exec_lo, exec_lo, s3
	s_mov_b32 s3, 0
.LBB1_44:
	s_delay_alu instid0(SALU_CYCLE_1)
	s_and_not1_b32 vcc_lo, exec_lo, s3
	s_cbranch_vccnz .LBB1_49
; %bb.45:
	v_lshlrev_b32_e32 v13, 3, v11
	v_cmp_gt_i32_e32 vcc_lo, s9, v4
	ds_load_2addr_stride64_b64 v[0:3], v13 offset1:1
	ds_load_2addr_stride64_b64 v[5:8], v13 offset0:2 offset1:3
	ds_load_2addr_stride64_b64 v[9:12], v13 offset0:4 offset1:5
	s_waitcnt lgkmcnt(2)
	v_add_f32_e32 v0, v0, v2
	s_waitcnt lgkmcnt(1)
	s_delay_alu instid0(VALU_DEP_1) | instskip(SKIP_3) | instid1(VALU_DEP_1)
	v_dual_add_f32 v14, v1, v3 :: v_dual_add_f32 v5, v0, v5
	ds_load_2addr_stride64_b64 v[0:3], v13 offset0:6 offset1:7
	v_dual_add_f32 v6, v14, v6 :: v_dual_add_f32 v5, v5, v7
	s_waitcnt lgkmcnt(1)
	v_dual_add_f32 v14, v6, v8 :: v_dual_add_f32 v9, v5, v9
	ds_load_2addr_stride64_b64 v[5:8], v13 offset0:8 offset1:9
	v_dual_add_f32 v10, v14, v10 :: v_dual_add_f32 v9, v9, v11
	s_waitcnt lgkmcnt(1)
	s_delay_alu instid0(VALU_DEP_1) | instskip(NEXT) | instid1(VALU_DEP_1)
	v_add_f32_e32 v0, v9, v0
	v_add_f32_e32 v0, v0, v2
	s_delay_alu instid0(VALU_DEP_3) | instskip(SKIP_4) | instid1(VALU_DEP_1)
	v_add_f32_e32 v14, v10, v12
	ds_load_2addr_stride64_b64 v[9:12], v13 offset0:10 offset1:11
	s_waitcnt lgkmcnt(1)
	v_add_f32_e32 v5, v0, v5
	v_add_f32_e32 v1, v14, v1
	;; [unrolled: 1-line block ×3, first 2 shown]
	ds_load_2addr_stride64_b64 v[0:3], v13 offset0:12 offset1:13
	v_add_f32_e32 v6, v14, v6
	v_add_f32_e32 v14, v5, v7
	s_waitcnt lgkmcnt(1)
	s_delay_alu instid0(VALU_DEP_1) | instskip(NEXT) | instid1(VALU_DEP_1)
	v_add_f32_e32 v9, v14, v9
	v_add_f32_e32 v9, v9, v11
	;; [unrolled: 1-line block ×3, first 2 shown]
	ds_load_2addr_stride64_b64 v[5:8], v13 offset0:14 offset1:15
	s_waitcnt lgkmcnt(1)
	v_add_f32_e32 v0, v9, v0
	v_add_f32_e32 v10, v15, v10
	s_delay_alu instid0(VALU_DEP_1) | instskip(NEXT) | instid1(VALU_DEP_1)
	v_add_f32_e32 v10, v10, v12
	v_add_f32_e32 v1, v10, v1
	s_delay_alu instid0(VALU_DEP_1) | instskip(SKIP_1) | instid1(VALU_DEP_1)
	v_add_f32_e32 v1, v1, v3
	s_waitcnt lgkmcnt(0)
	v_add_f32_e32 v1, v1, v6
	s_delay_alu instid0(VALU_DEP_1) | instskip(NEXT) | instid1(VALU_DEP_1)
	v_dual_add_f32 v0, v0, v2 :: v_dual_add_f32 v1, v1, v8
	v_add_f32_e32 v0, v0, v5
	s_delay_alu instid0(VALU_DEP_1)
	v_add_f32_e32 v0, v0, v7
	ds_store_b64 v13, v[0:1]
	s_and_b32 exec_lo, exec_lo, vcc_lo
	s_cbranch_execz .LBB1_49
; %bb.46:
	v_ashrrev_i32_e32 v2, 31, v4
	v_mul_lo_u32 v3, v4, s5
	v_mad_u64_u32 v[5:6], null, v4, s4, 0
	v_mul_f32_e32 v4, s33, v1
	s_delay_alu instid0(VALU_DEP_4) | instskip(SKIP_2) | instid1(VALU_DEP_1)
	v_mul_lo_u32 v2, v2, s4
	v_cmp_neq_f32_e64 s0, s12, 0
	v_cmp_neq_f32_e64 s3, s13, 0
	s_or_b32 s0, s0, s3
	s_delay_alu instid0(VALU_DEP_3) | instskip(SKIP_3) | instid1(VALU_DEP_3)
	v_add3_u32 v6, v6, v3, v2
	v_mul_f32_e32 v2, s11, v1
	v_fma_f32 v1, v0, s11, -v4
	s_and_not1_b32 vcc_lo, exec_lo, s0
	v_lshlrev_b64 v[3:4], 3, v[5:6]
	s_delay_alu instid0(VALU_DEP_3)
	v_fmac_f32_e32 v2, s33, v0
	s_cbranch_vccnz .LBB1_48
; %bb.47:
	s_delay_alu instid0(VALU_DEP_2) | instskip(NEXT) | instid1(VALU_DEP_3)
	v_add_co_u32 v5, vcc_lo, s1, v3
	v_add_co_ci_u32_e32 v6, vcc_lo, s2, v4, vcc_lo
	global_load_b64 v[5:6], v[5:6], off
	s_waitcnt vmcnt(0)
	v_mul_f32_e32 v0, s13, v6
	s_delay_alu instid0(VALU_DEP_1) | instskip(NEXT) | instid1(VALU_DEP_1)
	v_fma_f32 v0, s12, v5, -v0
	v_dual_mul_f32 v6, s12, v6 :: v_dual_add_f32 v1, v1, v0
	s_delay_alu instid0(VALU_DEP_1) | instskip(NEXT) | instid1(VALU_DEP_1)
	v_fmac_f32_e32 v6, s13, v5
	v_add_f32_e32 v2, v2, v6
.LBB1_48:
	s_delay_alu instid0(VALU_DEP_2) | instskip(NEXT) | instid1(VALU_DEP_3)
	v_add_co_u32 v3, vcc_lo, s1, v3
	v_add_co_ci_u32_e32 v4, vcc_lo, s2, v4, vcc_lo
	global_store_b64 v[3:4], v[1:2], off
.LBB1_49:
	s_nop 0
	s_sendmsg sendmsg(MSG_DEALLOC_VGPRS)
	s_endpgm
	.section	.rodata,"a",@progbits
	.p2align	6, 0x0
	.amdhsa_kernel _ZL20rocblas_hbmvn_kernelILi64ELi16E19rocblas_complex_numIfEPKS1_PS1_EvbiiT1_T2_lllS6_lllS5_T3_llli
		.amdhsa_group_segment_fixed_size 8192
		.amdhsa_private_segment_fixed_size 0
		.amdhsa_kernarg_size 392
		.amdhsa_user_sgpr_count 14
		.amdhsa_user_sgpr_dispatch_ptr 0
		.amdhsa_user_sgpr_queue_ptr 0
		.amdhsa_user_sgpr_kernarg_segment_ptr 1
		.amdhsa_user_sgpr_dispatch_id 0
		.amdhsa_user_sgpr_private_segment_size 0
		.amdhsa_wavefront_size32 1
		.amdhsa_uses_dynamic_stack 0
		.amdhsa_enable_private_segment 0
		.amdhsa_system_sgpr_workgroup_id_x 1
		.amdhsa_system_sgpr_workgroup_id_y 0
		.amdhsa_system_sgpr_workgroup_id_z 1
		.amdhsa_system_sgpr_workgroup_info 0
		.amdhsa_system_vgpr_workitem_id 1
		.amdhsa_next_free_vgpr 23
		.amdhsa_next_free_sgpr 41
		.amdhsa_reserve_vcc 1
		.amdhsa_float_round_mode_32 0
		.amdhsa_float_round_mode_16_64 0
		.amdhsa_float_denorm_mode_32 3
		.amdhsa_float_denorm_mode_16_64 3
		.amdhsa_dx10_clamp 1
		.amdhsa_ieee_mode 1
		.amdhsa_fp16_overflow 0
		.amdhsa_workgroup_processor_mode 1
		.amdhsa_memory_ordered 1
		.amdhsa_forward_progress 0
		.amdhsa_shared_vgpr_count 0
		.amdhsa_exception_fp_ieee_invalid_op 0
		.amdhsa_exception_fp_denorm_src 0
		.amdhsa_exception_fp_ieee_div_zero 0
		.amdhsa_exception_fp_ieee_overflow 0
		.amdhsa_exception_fp_ieee_underflow 0
		.amdhsa_exception_fp_ieee_inexact 0
		.amdhsa_exception_int_div_zero 0
	.end_amdhsa_kernel
	.section	.text._ZL20rocblas_hbmvn_kernelILi64ELi16E19rocblas_complex_numIfEPKS1_PS1_EvbiiT1_T2_lllS6_lllS5_T3_llli,"axG",@progbits,_ZL20rocblas_hbmvn_kernelILi64ELi16E19rocblas_complex_numIfEPKS1_PS1_EvbiiT1_T2_lllS6_lllS5_T3_llli,comdat
.Lfunc_end1:
	.size	_ZL20rocblas_hbmvn_kernelILi64ELi16E19rocblas_complex_numIfEPKS1_PS1_EvbiiT1_T2_lllS6_lllS5_T3_llli, .Lfunc_end1-_ZL20rocblas_hbmvn_kernelILi64ELi16E19rocblas_complex_numIfEPKS1_PS1_EvbiiT1_T2_lllS6_lllS5_T3_llli
                                        ; -- End function
	.section	.AMDGPU.csdata,"",@progbits
; Kernel info:
; codeLenInByte = 2324
; NumSgprs: 43
; NumVgprs: 23
; ScratchSize: 0
; MemoryBound: 0
; FloatMode: 240
; IeeeMode: 1
; LDSByteSize: 8192 bytes/workgroup (compile time only)
; SGPRBlocks: 5
; VGPRBlocks: 2
; NumSGPRsForWavesPerEU: 43
; NumVGPRsForWavesPerEU: 23
; Occupancy: 16
; WaveLimiterHint : 1
; COMPUTE_PGM_RSRC2:SCRATCH_EN: 0
; COMPUTE_PGM_RSRC2:USER_SGPR: 14
; COMPUTE_PGM_RSRC2:TRAP_HANDLER: 0
; COMPUTE_PGM_RSRC2:TGID_X_EN: 1
; COMPUTE_PGM_RSRC2:TGID_Y_EN: 0
; COMPUTE_PGM_RSRC2:TGID_Z_EN: 1
; COMPUTE_PGM_RSRC2:TIDIG_COMP_CNT: 1
	.section	.text._ZL20rocblas_hbmvn_kernelILi64ELi16EPK19rocblas_complex_numIdES3_PS1_EvbiiT1_T2_lllS6_lllS5_T3_llli,"axG",@progbits,_ZL20rocblas_hbmvn_kernelILi64ELi16EPK19rocblas_complex_numIdES3_PS1_EvbiiT1_T2_lllS6_lllS5_T3_llli,comdat
	.globl	_ZL20rocblas_hbmvn_kernelILi64ELi16EPK19rocblas_complex_numIdES3_PS1_EvbiiT1_T2_lllS6_lllS5_T3_llli ; -- Begin function _ZL20rocblas_hbmvn_kernelILi64ELi16EPK19rocblas_complex_numIdES3_PS1_EvbiiT1_T2_lllS6_lllS5_T3_llli
	.p2align	8
	.type	_ZL20rocblas_hbmvn_kernelILi64ELi16EPK19rocblas_complex_numIdES3_PS1_EvbiiT1_T2_lllS6_lllS5_T3_llli,@function
_ZL20rocblas_hbmvn_kernelILi64ELi16EPK19rocblas_complex_numIdES3_PS1_EvbiiT1_T2_lllS6_lllS5_T3_llli: ; @_ZL20rocblas_hbmvn_kernelILi64ELi16EPK19rocblas_complex_numIdES3_PS1_EvbiiT1_T2_lllS6_lllS5_T3_llli
; %bb.0:
	s_load_b64 s[2:3], s[0:1], 0x94
	s_waitcnt lgkmcnt(0)
	s_lshr_b32 s4, s2, 16
	s_and_b32 s2, s2, 0xffff
	s_and_b32 s3, s3, 0xffff
	s_mul_i32 s4, s4, s2
	s_delay_alu instid0(SALU_CYCLE_1) | instskip(NEXT) | instid1(SALU_CYCLE_1)
	s_mul_i32 s4, s4, s3
	s_cmpk_lg_i32 s4, 0x400
	s_cbranch_scc1 .LBB2_52
; %bb.1:
	s_clause 0x1
	s_load_b512 s[16:31], s[0:1], 0x10
	s_load_b256 s[4:11], s[0:1], 0x50
	s_waitcnt lgkmcnt(0)
	s_load_b128 s[40:43], s[16:17], 0x0
	s_load_b128 s[36:39], s[6:7], 0x0
	s_waitcnt lgkmcnt(0)
	v_cmp_neq_f64_e64 s3, s[40:41], 0
	v_cmp_neq_f64_e64 s12, s[42:43], 0
	s_delay_alu instid0(VALU_DEP_1)
	s_or_b32 s33, s3, s12
	s_mov_b32 s3, -1
	s_and_b32 vcc_lo, exec_lo, s33
	s_cbranch_vccnz .LBB2_3
; %bb.2:
	v_cmp_neq_f64_e64 s3, s[36:37], 1.0
	v_cmp_neq_f64_e64 s6, s[38:39], 0
	s_delay_alu instid0(VALU_DEP_1)
	s_or_b32 s3, s3, s6
.LBB2_3:
	s_delay_alu instid0(SALU_CYCLE_1)
	s_and_not1_b32 vcc_lo, exec_lo, s3
	s_cbranch_vccnz .LBB2_52
; %bb.4:
	s_clause 0x1
	s_load_b128 s[44:47], s[0:1], 0x70
	s_load_b128 s[48:51], s[0:1], 0x0
	v_and_b32_e32 v1, 0x3ff, v0
	v_bfe_u32 v0, v0, 10, 10
	s_and_not1_b32 vcc_lo, exec_lo, s33
	s_delay_alu instid0(VALU_DEP_1)
	v_mad_u32_u24 v18, v0, s2, v1
	s_cbranch_vccnz .LBB2_37
; %bb.5:
	v_mov_b32_e32 v2, 0
	v_mov_b32_e32 v3, 0
	s_delay_alu instid0(VALU_DEP_3) | instskip(NEXT) | instid1(VALU_DEP_3)
	v_lshrrev_b32_e32 v19, 6, v18
	v_mov_b32_e32 v0, v2
	s_mov_b32 s34, exec_lo
	s_delay_alu instid0(VALU_DEP_3)
	v_mov_b32_e32 v1, v3
	s_waitcnt lgkmcnt(0)
	v_cmpx_gt_i32_e64 s49, v19
	s_cbranch_execz .LBB2_36
; %bb.6:
	v_and_b32_e32 v9, 63, v18
	s_mul_i32 s0, s15, s25
	s_mul_hi_u32 s1, s15, s24
	s_lshl_b32 s25, s14, 6
	s_add_i32 s1, s1, s0
	s_mul_i32 s0, s15, s24
	v_or_b32_e32 v4, s25, v9
	v_add3_u32 v2, s50, s25, v9
	s_lshl_b64 s[2:3], s[0:1], 4
	s_lshl_b64 s[6:7], s[20:21], 4
	s_add_u32 s35, s18, s2
	s_addc_u32 s51, s19, s3
	s_add_u32 s52, s35, s6
	v_mad_u64_u32 v[0:1], null, s30, v19, 0
	v_ashrrev_i32_e32 v5, 31, v4
	v_sub_nc_u32_e32 v6, v2, v19
	v_mad_u64_u32 v[2:3], null, v4, s22, 0
	s_addc_u32 s53, s51, s7
	s_bitcmp1_b32 s48, 0
	v_mul_lo_u32 v10, v5, s22
	s_cselect_b32 s1, -1, 0
	v_mul_lo_u32 v11, v4, s23
	s_and_b32 s12, s1, exec_lo
	s_cselect_b32 s48, s50, 0
	s_xor_b32 s20, s1, -1
	v_mad_u64_u32 v[7:8], null, s31, v19, v[1:2]
	s_cmp_eq_u32 s50, 0
	s_mul_i32 s5, s5, s15
	s_cselect_b32 s12, -1, 0
	v_add3_u32 v3, v3, v11, v10
	s_or_b32 s24, s12, s20
	s_mul_hi_u32 s12, s4, s15
	v_sub_nc_u32_e32 v12, v4, v19
	s_add_i32 s5, s12, s5
	s_mul_i32 s4, s4, s15
	s_lshl_b64 s[12:13], s[28:29], 4
	v_mov_b32_e32 v1, v7
	s_lshl_b64 s[4:5], s[4:5], 4
	s_add_u32 s12, s26, s12
	v_lshlrev_b64 v[2:3], 4, v[2:3]
	s_addc_u32 s13, s27, s13
	v_cndmask_b32_e64 v20, v12, v6, s1
	s_add_u32 s26, s12, s4
	v_mad_u64_u32 v[12:13], null, s22, v19, 0
	s_addc_u32 s27, s13, s5
	s_lshl_b64 s[16:17], s[22:23], 4
	v_lshlrev_b64 v[0:1], 4, v[0:1]
	s_lshl_b64 s[4:5], s[30:31], 8
	s_lshl_b64 s[12:13], s[22:23], 8
	s_add_u32 s16, s16, -16
	v_add_co_u32 v21, vcc_lo, s52, v2
	v_mad_u64_u32 v[7:8], null, v19, s16, s[2:3]
	v_add_co_ci_u32_e32 v22, vcc_lo, s53, v3, vcc_lo
	v_mov_b32_e32 v2, v13
	v_add_co_u32 v3, vcc_lo, s26, v0
	v_add_co_ci_u32_e32 v13, vcc_lo, s27, v1, vcc_lo
	v_mov_b32_e32 v0, v8
	s_delay_alu instid0(VALU_DEP_3) | instskip(SKIP_2) | instid1(VALU_DEP_3)
	v_mad_u64_u32 v[10:11], null, s23, v19, v[2:3]
	s_addc_u32 s2, s17, -1
	v_add_co_u32 v8, vcc_lo, v3, 8
	v_mad_u64_u32 v[1:2], null, v19, s2, v[0:1]
	v_sub_nc_u32_e32 v14, s48, v9
	v_add_co_ci_u32_e32 v9, vcc_lo, 0, v13, vcc_lo
	v_mov_b32_e32 v13, v10
	v_lshlrev_b64 v[2:3], 4, v[4:5]
	v_dual_mov_b32 v11, 0 :: v_dual_mov_b32 v10, v1
	v_cmp_gt_i32_e64 s0, s49, v4
	s_delay_alu instid0(VALU_DEP_4) | instskip(SKIP_3) | instid1(VALU_DEP_4)
	v_lshlrev_b64 v[0:1], 4, v[12:13]
	v_subrev_nc_u32_e32 v5, s25, v14
	v_add_co_u32 v2, vcc_lo, v7, v2
	v_add_co_ci_u32_e32 v3, vcc_lo, v10, v3, vcc_lo
	v_add_co_u32 v23, vcc_lo, s35, v0
	v_add_co_ci_u32_e32 v24, vcc_lo, s51, v1, vcc_lo
	s_delay_alu instid0(VALU_DEP_4) | instskip(NEXT) | instid1(VALU_DEP_4)
	v_add_co_u32 v0, vcc_lo, v2, s18
	v_add_co_ci_u32_e32 v1, vcc_lo, s19, v3, vcc_lo
	v_mov_b32_e32 v2, 0
	v_mov_b32_e32 v3, 0
	v_add_co_u32 v25, vcc_lo, v23, 8
	v_add_co_ci_u32_e32 v26, vcc_lo, 0, v24, vcc_lo
	v_add_co_u32 v27, vcc_lo, v0, 8
	v_add_co_ci_u32_e32 v28, vcc_lo, 0, v1, vcc_lo
	v_dual_mov_b32 v0, v2 :: v_dual_mov_b32 v1, v3
	s_add_u32 s3, s12, 0xffffff00
	s_mov_b32 s21, 0
	s_addc_u32 s18, s13, -1
	s_mov_b64 s[16:17], 0
	s_branch .LBB2_10
.LBB2_7:                                ;   in Loop: Header=BB2_10 Depth=1
	s_or_b32 exec_lo, exec_lo, s2
.LBB2_8:                                ;   in Loop: Header=BB2_10 Depth=1
	s_delay_alu instid0(SALU_CYCLE_1)
	s_or_b32 exec_lo, exec_lo, s22
.LBB2_9:                                ;   in Loop: Header=BB2_10 Depth=1
	s_delay_alu instid0(SALU_CYCLE_1)
	s_or_b32 exec_lo, exec_lo, s19
	v_add_co_u32 v8, vcc_lo, v8, s4
	v_add_co_ci_u32_e32 v9, vcc_lo, s5, v9, vcc_lo
	v_add_co_u32 v25, vcc_lo, v25, s12
	v_add_nc_u32_e32 v19, 16, v19
	v_add_co_ci_u32_e32 v26, vcc_lo, s13, v26, vcc_lo
	v_add_co_u32 v23, vcc_lo, v23, s12
	v_add_co_ci_u32_e32 v24, vcc_lo, s13, v24, vcc_lo
	s_delay_alu instid0(VALU_DEP_4)
	v_cmp_le_i32_e32 vcc_lo, s49, v19
	v_add_co_u32 v27, s2, v27, s3
	v_add_nc_u32_e32 v6, -16, v6
	v_add_co_ci_u32_e64 v28, s2, s18, v28, s2
	s_add_u32 s16, s16, -16
	s_addc_u32 s17, s17, -1
	s_or_b32 s21, vcc_lo, s21
	s_delay_alu instid0(SALU_CYCLE_1)
	s_and_not1_b32 exec_lo, exec_lo, s21
	s_cbranch_execz .LBB2_35
.LBB2_10:                               ; =>This Inner Loop Header: Depth=1
	s_and_saveexec_b32 s19, s0
	s_cbranch_execz .LBB2_9
; %bb.11:                               ;   in Loop: Header=BB2_10 Depth=1
	v_cmp_lt_i32_e32 vcc_lo, v19, v4
	v_cmp_gt_i32_e64 s2, v19, v4
	s_or_b32 s22, vcc_lo, s20
	s_delay_alu instid0(VALU_DEP_1) | instskip(NEXT) | instid1(SALU_CYCLE_1)
	s_or_b32 s2, s2, s1
	s_and_b32 s2, s22, s2
	s_delay_alu instid0(SALU_CYCLE_1) | instskip(NEXT) | instid1(SALU_CYCLE_1)
	s_xor_b32 s2, s2, -1
	s_and_saveexec_b32 s22, s2
	s_delay_alu instid0(SALU_CYCLE_1)
	s_xor_b32 s22, exec_lo, s22
	s_cbranch_execz .LBB2_32
; %bb.12:                               ;   in Loop: Header=BB2_10 Depth=1
	v_add_nc_u32_e32 v10, s16, v20
	s_delay_alu instid0(VALU_DEP_1) | instskip(SKIP_1) | instid1(VALU_DEP_1)
	v_cmp_le_i32_e32 vcc_lo, s50, v10
	v_cmp_gt_i32_e64 s2, 1, v10
	s_or_b32 s2, vcc_lo, s2
	s_delay_alu instid0(SALU_CYCLE_1) | instskip(NEXT) | instid1(SALU_CYCLE_1)
	s_and_saveexec_b32 s23, s2
	s_xor_b32 s2, exec_lo, s23
	s_cbranch_execz .LBB2_29
; %bb.13:                               ;   in Loop: Header=BB2_10 Depth=1
	s_mov_b32 s23, exec_lo
	v_cmpx_ne_u32_e32 0, v10
	s_xor_b32 s23, exec_lo, s23
	s_cbranch_execz .LBB2_22
; %bb.14:                               ;   in Loop: Header=BB2_10 Depth=1
	s_mov_b32 s25, exec_lo
	v_cmpx_eq_u32_e64 s50, v10
	s_cbranch_execz .LBB2_21
; %bb.15:                               ;   in Loop: Header=BB2_10 Depth=1
	s_and_b32 vcc_lo, exec_lo, s20
	s_cbranch_vccz .LBB2_17
; %bb.16:                               ;   in Loop: Header=BB2_10 Depth=1
	v_add_co_u32 v16, vcc_lo, v27, s6
	v_add_co_ci_u32_e32 v17, vcc_lo, s7, v28, vcc_lo
	s_mov_b32 s26, 0
	global_load_b128 v[12:15], v[8:9], off offset:-8
	global_load_b128 v[29:32], v[16:17], off offset:-8
	s_waitcnt vmcnt(0)
	v_mul_f64 v[16:17], v[14:15], v[31:32]
	v_mul_f64 v[31:32], v[12:13], v[31:32]
	s_delay_alu instid0(VALU_DEP_2) | instskip(NEXT) | instid1(VALU_DEP_2)
	v_fma_f64 v[12:13], v[12:13], v[29:30], -v[16:17]
	v_fma_f64 v[14:15], v[14:15], v[29:30], v[31:32]
	s_delay_alu instid0(VALU_DEP_2) | instskip(NEXT) | instid1(VALU_DEP_2)
	v_add_f64 v[12:13], v[0:1], v[12:13]
	v_add_f64 v[14:15], v[2:3], v[14:15]
	s_branch .LBB2_18
.LBB2_17:                               ;   in Loop: Header=BB2_10 Depth=1
	s_mov_b32 s26, -1
                                        ; implicit-def: $vgpr14_vgpr15
                                        ; implicit-def: $vgpr12_vgpr13
.LBB2_18:                               ;   in Loop: Header=BB2_10 Depth=1
	s_delay_alu instid0(SALU_CYCLE_1)
	s_and_not1_b32 vcc_lo, exec_lo, s26
	s_cbranch_vccnz .LBB2_20
; %bb.19:                               ;   in Loop: Header=BB2_10 Depth=1
	v_ashrrev_i32_e32 v7, 31, v6
	s_delay_alu instid0(VALU_DEP_1) | instskip(NEXT) | instid1(VALU_DEP_1)
	v_lshlrev_b64 v[12:13], 4, v[6:7]
	v_add_co_u32 v7, vcc_lo, v23, v12
	s_delay_alu instid0(VALU_DEP_2) | instskip(NEXT) | instid1(VALU_DEP_2)
	v_add_co_ci_u32_e32 v10, vcc_lo, v24, v13, vcc_lo
	v_add_co_u32 v16, vcc_lo, v7, s6
	s_delay_alu instid0(VALU_DEP_2)
	v_add_co_ci_u32_e32 v17, vcc_lo, s7, v10, vcc_lo
	global_load_b128 v[12:15], v[8:9], off offset:-8
	global_load_b64 v[16:17], v[16:17], off
	s_waitcnt vmcnt(0)
	v_fma_f64 v[12:13], v[16:17], v[12:13], v[0:1]
	v_fma_f64 v[14:15], v[16:17], v[14:15], v[2:3]
.LBB2_20:                               ;   in Loop: Header=BB2_10 Depth=1
	s_delay_alu instid0(VALU_DEP_1) | instskip(NEXT) | instid1(VALU_DEP_3)
	v_dual_mov_b32 v2, v14 :: v_dual_mov_b32 v3, v15
	v_dual_mov_b32 v0, v12 :: v_dual_mov_b32 v1, v13
.LBB2_21:                               ;   in Loop: Header=BB2_10 Depth=1
	s_or_b32 exec_lo, exec_lo, s25
.LBB2_22:                               ;   in Loop: Header=BB2_10 Depth=1
	s_and_not1_saveexec_b32 s23, s23
	s_cbranch_execz .LBB2_28
; %bb.23:                               ;   in Loop: Header=BB2_10 Depth=1
	v_add_co_u32 v12, vcc_lo, v25, s6
	v_add_co_ci_u32_e32 v13, vcc_lo, s7, v26, vcc_lo
	s_and_not1_b32 vcc_lo, exec_lo, s24
	s_cbranch_vccnz .LBB2_25
; %bb.24:                               ;   in Loop: Header=BB2_10 Depth=1
	global_load_b64 v[29:30], v[12:13], off offset:-8
	global_load_b128 v[14:17], v[8:9], off offset:-8
	s_waitcnt vmcnt(0)
	v_fma_f64 v[14:15], v[29:30], v[14:15], v[0:1]
	v_fma_f64 v[16:17], v[29:30], v[16:17], v[2:3]
	s_cbranch_execz .LBB2_26
	s_branch .LBB2_27
.LBB2_25:                               ;   in Loop: Header=BB2_10 Depth=1
                                        ; implicit-def: $vgpr16_vgpr17
                                        ; implicit-def: $vgpr14_vgpr15
.LBB2_26:                               ;   in Loop: Header=BB2_10 Depth=1
	global_load_b128 v[14:17], v[8:9], off offset:-8
	global_load_b128 v[29:32], v[12:13], off offset:-8
	s_waitcnt vmcnt(0)
	v_mul_f64 v[12:13], v[16:17], v[31:32]
	v_mul_f64 v[31:32], v[14:15], v[31:32]
	s_delay_alu instid0(VALU_DEP_2) | instskip(NEXT) | instid1(VALU_DEP_2)
	v_fma_f64 v[12:13], v[14:15], v[29:30], -v[12:13]
	v_fma_f64 v[16:17], v[16:17], v[29:30], v[31:32]
	s_delay_alu instid0(VALU_DEP_2) | instskip(NEXT) | instid1(VALU_DEP_2)
	v_add_f64 v[14:15], v[0:1], v[12:13]
	v_add_f64 v[16:17], v[2:3], v[16:17]
.LBB2_27:                               ;   in Loop: Header=BB2_10 Depth=1
	s_delay_alu instid0(VALU_DEP_1) | instskip(NEXT) | instid1(VALU_DEP_3)
	v_dual_mov_b32 v2, v16 :: v_dual_mov_b32 v3, v17
	v_dual_mov_b32 v0, v14 :: v_dual_mov_b32 v1, v15
.LBB2_28:                               ;   in Loop: Header=BB2_10 Depth=1
	s_or_b32 exec_lo, exec_lo, s23
.LBB2_29:                               ;   in Loop: Header=BB2_10 Depth=1
	s_and_not1_saveexec_b32 s2, s2
	s_cbranch_execz .LBB2_31
; %bb.30:                               ;   in Loop: Header=BB2_10 Depth=1
	v_lshlrev_b64 v[12:13], 4, v[10:11]
	v_add_co_u32 v7, vcc_lo, v25, s6
	v_add_co_ci_u32_e32 v10, vcc_lo, s7, v26, vcc_lo
	s_delay_alu instid0(VALU_DEP_2) | instskip(NEXT) | instid1(VALU_DEP_2)
	v_add_co_u32 v16, vcc_lo, v7, v12
	v_add_co_ci_u32_e32 v17, vcc_lo, v10, v13, vcc_lo
	global_load_b128 v[12:15], v[8:9], off offset:-8
	global_load_b128 v[29:32], v[16:17], off offset:-8
	s_waitcnt vmcnt(0)
	v_mul_f64 v[16:17], v[14:15], v[31:32]
	v_mul_f64 v[31:32], v[12:13], v[31:32]
	s_delay_alu instid0(VALU_DEP_2) | instskip(NEXT) | instid1(VALU_DEP_2)
	v_fma_f64 v[12:13], v[12:13], v[29:30], -v[16:17]
	v_fma_f64 v[14:15], v[14:15], v[29:30], v[31:32]
	s_delay_alu instid0(VALU_DEP_2) | instskip(NEXT) | instid1(VALU_DEP_2)
	v_add_f64 v[0:1], v[0:1], v[12:13]
	v_add_f64 v[2:3], v[2:3], v[14:15]
.LBB2_31:                               ;   in Loop: Header=BB2_10 Depth=1
	s_or_b32 exec_lo, exec_lo, s2
.LBB2_32:                               ;   in Loop: Header=BB2_10 Depth=1
	s_and_not1_saveexec_b32 s22, s22
	s_cbranch_execz .LBB2_8
; %bb.33:                               ;   in Loop: Header=BB2_10 Depth=1
	v_add_nc_u32_e32 v10, v5, v19
	s_delay_alu instid0(VALU_DEP_1) | instskip(SKIP_1) | instid1(VALU_DEP_1)
	v_cmp_ge_i32_e32 vcc_lo, s50, v10
	v_cmp_lt_i32_e64 s2, -1, v10
	s_and_b32 s23, vcc_lo, s2
	s_delay_alu instid0(SALU_CYCLE_1)
	s_and_saveexec_b32 s2, s23
	s_cbranch_execz .LBB2_7
; %bb.34:                               ;   in Loop: Header=BB2_10 Depth=1
	v_lshlrev_b64 v[12:13], 4, v[10:11]
	s_delay_alu instid0(VALU_DEP_1) | instskip(NEXT) | instid1(VALU_DEP_2)
	v_add_co_u32 v16, vcc_lo, v21, v12
	v_add_co_ci_u32_e32 v17, vcc_lo, v22, v13, vcc_lo
	global_load_b128 v[12:15], v[8:9], off offset:-8
	global_load_b128 v[29:32], v[16:17], off
	s_waitcnt vmcnt(0)
	v_mul_f64 v[16:17], v[31:32], v[14:15]
	v_mul_f64 v[31:32], v[31:32], v[12:13]
	s_delay_alu instid0(VALU_DEP_2) | instskip(NEXT) | instid1(VALU_DEP_2)
	v_fma_f64 v[12:13], v[29:30], v[12:13], v[16:17]
	v_fma_f64 v[14:15], v[29:30], v[14:15], -v[31:32]
	s_delay_alu instid0(VALU_DEP_2) | instskip(NEXT) | instid1(VALU_DEP_2)
	v_add_f64 v[0:1], v[0:1], v[12:13]
	v_add_f64 v[2:3], v[2:3], v[14:15]
	s_branch .LBB2_7
.LBB2_35:
	s_or_b32 exec_lo, exec_lo, s21
.LBB2_36:
	s_delay_alu instid0(SALU_CYCLE_1)
	s_or_b32 exec_lo, exec_lo, s34
	v_lshlrev_b32_e32 v4, 4, v18
	ds_store_b128 v4, v[0:3]
	s_waitcnt lgkmcnt(0)
	s_barrier
	buffer_gl0_inv
.LBB2_37:
	s_mov_b32 s0, exec_lo
	s_delay_alu instid0(VALU_DEP_1)
	v_cmpx_gt_u32_e32 64, v18
	s_cbranch_execz .LBB2_52
; %bb.38:
	s_waitcnt lgkmcnt(0)
	s_mul_i32 s1, s15, s47
	s_mul_hi_u32 s2, s15, s46
	s_mul_i32 s0, s15, s46
	s_add_i32 s1, s2, s1
	v_lshl_or_b32 v10, s14, 6, v18
	s_lshl_b64 s[0:1], s[0:1], 4
	s_xor_b32 s4, s33, -1
	s_add_u32 s0, s8, s0
	s_addc_u32 s5, s9, s1
	s_lshl_b64 s[2:3], s[10:11], 4
	s_delay_alu instid0(SALU_CYCLE_1)
	s_add_u32 s1, s0, s2
	v_cmp_gt_i32_e64 s0, s49, v10
	s_addc_u32 s2, s5, s3
	s_and_b32 vcc_lo, exec_lo, s4
	s_cbranch_vccz .LBB2_44
; %bb.39:
	s_mov_b32 s4, 0
	s_mov_b32 s3, 0
                                        ; implicit-def: $vgpr2_vgpr3
                                        ; implicit-def: $vgpr8_vgpr9
	s_and_saveexec_b32 s5, s0
	s_delay_alu instid0(SALU_CYCLE_1)
	s_xor_b32 s0, exec_lo, s5
	s_cbranch_execz .LBB2_43
; %bb.40:
	v_cmp_neq_f64_e64 s3, s[36:37], 0
	v_cmp_neq_f64_e64 s5, s[38:39], 0
	v_ashrrev_i32_e32 v0, 31, v10
	v_mul_lo_u32 v1, v10, s45
	v_mad_u64_u32 v[8:9], null, v10, s44, 0
	v_mov_b32_e32 v2, 0
	s_delay_alu instid0(VALU_DEP_4) | instskip(SKIP_1) | instid1(VALU_DEP_2)
	v_mul_lo_u32 v0, v0, s44
	v_mov_b32_e32 v3, 0
	v_add3_u32 v9, v9, v1, v0
	s_delay_alu instid0(VALU_DEP_2) | instskip(SKIP_1) | instid1(SALU_CYCLE_1)
	v_dual_mov_b32 v0, v2 :: v_dual_mov_b32 v1, v3
	s_or_b32 s3, s3, s5
	s_and_not1_b32 vcc_lo, exec_lo, s3
	s_cbranch_vccnz .LBB2_42
; %bb.41:
	v_lshlrev_b64 v[0:1], 4, v[8:9]
	s_delay_alu instid0(VALU_DEP_1) | instskip(NEXT) | instid1(VALU_DEP_2)
	v_add_co_u32 v0, vcc_lo, s1, v0
	v_add_co_ci_u32_e32 v1, vcc_lo, s2, v1, vcc_lo
	global_load_b128 v[2:5], v[0:1], off
	s_waitcnt vmcnt(0)
	v_mul_f64 v[0:1], s[38:39], v[4:5]
	v_mul_f64 v[4:5], s[36:37], v[4:5]
	s_delay_alu instid0(VALU_DEP_2) | instskip(NEXT) | instid1(VALU_DEP_2)
	v_fma_f64 v[0:1], s[36:37], v[2:3], -v[0:1]
	v_fma_f64 v[2:3], s[38:39], v[2:3], v[4:5]
.LBB2_42:
	s_mov_b32 s3, exec_lo
.LBB2_43:
	s_or_b32 exec_lo, exec_lo, s0
	s_delay_alu instid0(SALU_CYCLE_1)
	s_and_b32 vcc_lo, exec_lo, s4
	s_cbranch_vccnz .LBB2_45
	s_branch .LBB2_50
.LBB2_44:
	s_mov_b32 s3, 0
                                        ; implicit-def: $vgpr2_vgpr3
                                        ; implicit-def: $vgpr8_vgpr9
	s_cbranch_execz .LBB2_50
.LBB2_45:
	v_lshlrev_b32_e32 v13, 4, v18
	s_mov_b32 s0, exec_lo
	ds_load_b128 v[0:3], v13
	ds_load_b128 v[4:7], v13 offset:1024
	s_waitcnt lgkmcnt(0)
	v_add_f64 v[8:9], v[0:1], v[4:5]
	v_add_f64 v[11:12], v[2:3], v[6:7]
	ds_load_b128 v[0:3], v13 offset:2048
	ds_load_b128 v[4:7], v13 offset:3072
	s_waitcnt lgkmcnt(1)
	v_add_f64 v[0:1], v[8:9], v[0:1]
	v_add_f64 v[2:3], v[11:12], v[2:3]
	s_waitcnt lgkmcnt(0)
	s_delay_alu instid0(VALU_DEP_2) | instskip(NEXT) | instid1(VALU_DEP_2)
	v_add_f64 v[8:9], v[0:1], v[4:5]
	v_add_f64 v[11:12], v[2:3], v[6:7]
	ds_load_b128 v[0:3], v13 offset:4096
	ds_load_b128 v[4:7], v13 offset:5120
	s_waitcnt lgkmcnt(1)
	v_add_f64 v[0:1], v[8:9], v[0:1]
	v_add_f64 v[2:3], v[11:12], v[2:3]
	s_waitcnt lgkmcnt(0)
	s_delay_alu instid0(VALU_DEP_2) | instskip(NEXT) | instid1(VALU_DEP_2)
	;; [unrolled: 9-line block ×6, first 2 shown]
	v_add_f64 v[8:9], v[0:1], v[4:5]
	v_add_f64 v[11:12], v[2:3], v[6:7]
	ds_load_b128 v[0:3], v13 offset:14336
	ds_load_b128 v[4:7], v13 offset:15360
	s_waitcnt lgkmcnt(1)
	v_add_f64 v[0:1], v[8:9], v[0:1]
	v_add_f64 v[2:3], v[11:12], v[2:3]
                                        ; implicit-def: $vgpr8_vgpr9
	s_waitcnt lgkmcnt(0)
	s_delay_alu instid0(VALU_DEP_2) | instskip(NEXT) | instid1(VALU_DEP_2)
	v_add_f64 v[4:5], v[0:1], v[4:5]
	v_add_f64 v[6:7], v[2:3], v[6:7]
                                        ; implicit-def: $vgpr2_vgpr3
	ds_store_b128 v13, v[4:7]
	v_cmpx_gt_i32_e64 s49, v10
	s_cbranch_execz .LBB2_49
; %bb.46:
	v_mul_f64 v[0:1], s[42:43], v[6:7]
	v_mul_f64 v[2:3], s[40:41], v[6:7]
	v_cmp_neq_f64_e64 s4, s[36:37], 0
	v_cmp_neq_f64_e64 s5, s[38:39], 0
	v_mad_u64_u32 v[8:9], null, v10, s44, 0
	v_fma_f64 v[0:1], s[40:41], v[4:5], -v[0:1]
	v_fma_f64 v[2:3], s[42:43], v[4:5], v[2:3]
	v_ashrrev_i32_e32 v4, 31, v10
	v_mul_lo_u32 v5, v10, s45
	s_or_b32 s4, s4, s5
	s_delay_alu instid0(SALU_CYCLE_1) | instskip(NEXT) | instid1(VALU_DEP_2)
	s_and_not1_b32 vcc_lo, exec_lo, s4
	v_mul_lo_u32 v4, v4, s44
	s_delay_alu instid0(VALU_DEP_1)
	v_add3_u32 v9, v9, v5, v4
	s_cbranch_vccnz .LBB2_48
; %bb.47:
	s_delay_alu instid0(VALU_DEP_1) | instskip(NEXT) | instid1(VALU_DEP_1)
	v_lshlrev_b64 v[4:5], 4, v[8:9]
	v_add_co_u32 v4, vcc_lo, s1, v4
	s_delay_alu instid0(VALU_DEP_2) | instskip(SKIP_4) | instid1(VALU_DEP_2)
	v_add_co_ci_u32_e32 v5, vcc_lo, s2, v5, vcc_lo
	global_load_b128 v[4:7], v[4:5], off
	s_waitcnt vmcnt(0)
	v_mul_f64 v[10:11], s[38:39], v[6:7]
	v_mul_f64 v[6:7], s[36:37], v[6:7]
	v_fma_f64 v[10:11], s[36:37], v[4:5], -v[10:11]
	s_delay_alu instid0(VALU_DEP_2) | instskip(NEXT) | instid1(VALU_DEP_2)
	v_fma_f64 v[4:5], s[38:39], v[4:5], v[6:7]
	v_add_f64 v[0:1], v[0:1], v[10:11]
	s_delay_alu instid0(VALU_DEP_2)
	v_add_f64 v[2:3], v[2:3], v[4:5]
.LBB2_48:
	s_or_b32 s3, s3, exec_lo
.LBB2_49:
	s_or_b32 exec_lo, exec_lo, s0
.LBB2_50:
	s_delay_alu instid0(SALU_CYCLE_1)
	s_and_b32 exec_lo, exec_lo, s3
	s_cbranch_execz .LBB2_52
; %bb.51:
	v_lshlrev_b64 v[4:5], 4, v[8:9]
	s_delay_alu instid0(VALU_DEP_1) | instskip(NEXT) | instid1(VALU_DEP_2)
	v_add_co_u32 v4, vcc_lo, s1, v4
	v_add_co_ci_u32_e32 v5, vcc_lo, s2, v5, vcc_lo
	global_store_b128 v[4:5], v[0:3], off
.LBB2_52:
	s_nop 0
	s_sendmsg sendmsg(MSG_DEALLOC_VGPRS)
	s_endpgm
	.section	.rodata,"a",@progbits
	.p2align	6, 0x0
	.amdhsa_kernel _ZL20rocblas_hbmvn_kernelILi64ELi16EPK19rocblas_complex_numIdES3_PS1_EvbiiT1_T2_lllS6_lllS5_T3_llli
		.amdhsa_group_segment_fixed_size 16384
		.amdhsa_private_segment_fixed_size 0
		.amdhsa_kernarg_size 392
		.amdhsa_user_sgpr_count 14
		.amdhsa_user_sgpr_dispatch_ptr 0
		.amdhsa_user_sgpr_queue_ptr 0
		.amdhsa_user_sgpr_kernarg_segment_ptr 1
		.amdhsa_user_sgpr_dispatch_id 0
		.amdhsa_user_sgpr_private_segment_size 0
		.amdhsa_wavefront_size32 1
		.amdhsa_uses_dynamic_stack 0
		.amdhsa_enable_private_segment 0
		.amdhsa_system_sgpr_workgroup_id_x 1
		.amdhsa_system_sgpr_workgroup_id_y 0
		.amdhsa_system_sgpr_workgroup_id_z 1
		.amdhsa_system_sgpr_workgroup_info 0
		.amdhsa_system_vgpr_workitem_id 1
		.amdhsa_next_free_vgpr 33
		.amdhsa_next_free_sgpr 54
		.amdhsa_reserve_vcc 1
		.amdhsa_float_round_mode_32 0
		.amdhsa_float_round_mode_16_64 0
		.amdhsa_float_denorm_mode_32 3
		.amdhsa_float_denorm_mode_16_64 3
		.amdhsa_dx10_clamp 1
		.amdhsa_ieee_mode 1
		.amdhsa_fp16_overflow 0
		.amdhsa_workgroup_processor_mode 1
		.amdhsa_memory_ordered 1
		.amdhsa_forward_progress 0
		.amdhsa_shared_vgpr_count 0
		.amdhsa_exception_fp_ieee_invalid_op 0
		.amdhsa_exception_fp_denorm_src 0
		.amdhsa_exception_fp_ieee_div_zero 0
		.amdhsa_exception_fp_ieee_overflow 0
		.amdhsa_exception_fp_ieee_underflow 0
		.amdhsa_exception_fp_ieee_inexact 0
		.amdhsa_exception_int_div_zero 0
	.end_amdhsa_kernel
	.section	.text._ZL20rocblas_hbmvn_kernelILi64ELi16EPK19rocblas_complex_numIdES3_PS1_EvbiiT1_T2_lllS6_lllS5_T3_llli,"axG",@progbits,_ZL20rocblas_hbmvn_kernelILi64ELi16EPK19rocblas_complex_numIdES3_PS1_EvbiiT1_T2_lllS6_lllS5_T3_llli,comdat
.Lfunc_end2:
	.size	_ZL20rocblas_hbmvn_kernelILi64ELi16EPK19rocblas_complex_numIdES3_PS1_EvbiiT1_T2_lllS6_lllS5_T3_llli, .Lfunc_end2-_ZL20rocblas_hbmvn_kernelILi64ELi16EPK19rocblas_complex_numIdES3_PS1_EvbiiT1_T2_lllS6_lllS5_T3_llli
                                        ; -- End function
	.section	.AMDGPU.csdata,"",@progbits
; Kernel info:
; codeLenInByte = 2756
; NumSgprs: 56
; NumVgprs: 33
; ScratchSize: 0
; MemoryBound: 1
; FloatMode: 240
; IeeeMode: 1
; LDSByteSize: 16384 bytes/workgroup (compile time only)
; SGPRBlocks: 6
; VGPRBlocks: 4
; NumSGPRsForWavesPerEU: 56
; NumVGPRsForWavesPerEU: 33
; Occupancy: 16
; WaveLimiterHint : 0
; COMPUTE_PGM_RSRC2:SCRATCH_EN: 0
; COMPUTE_PGM_RSRC2:USER_SGPR: 14
; COMPUTE_PGM_RSRC2:TRAP_HANDLER: 0
; COMPUTE_PGM_RSRC2:TGID_X_EN: 1
; COMPUTE_PGM_RSRC2:TGID_Y_EN: 0
; COMPUTE_PGM_RSRC2:TGID_Z_EN: 1
; COMPUTE_PGM_RSRC2:TIDIG_COMP_CNT: 1
	.section	.text._ZL20rocblas_hbmvn_kernelILi64ELi16E19rocblas_complex_numIdEPKS1_PS1_EvbiiT1_T2_lllS6_lllS5_T3_llli,"axG",@progbits,_ZL20rocblas_hbmvn_kernelILi64ELi16E19rocblas_complex_numIdEPKS1_PS1_EvbiiT1_T2_lllS6_lllS5_T3_llli,comdat
	.globl	_ZL20rocblas_hbmvn_kernelILi64ELi16E19rocblas_complex_numIdEPKS1_PS1_EvbiiT1_T2_lllS6_lllS5_T3_llli ; -- Begin function _ZL20rocblas_hbmvn_kernelILi64ELi16E19rocblas_complex_numIdEPKS1_PS1_EvbiiT1_T2_lllS6_lllS5_T3_llli
	.p2align	8
	.type	_ZL20rocblas_hbmvn_kernelILi64ELi16E19rocblas_complex_numIdEPKS1_PS1_EvbiiT1_T2_lllS6_lllS5_T3_llli,@function
_ZL20rocblas_hbmvn_kernelILi64ELi16E19rocblas_complex_numIdEPKS1_PS1_EvbiiT1_T2_lllS6_lllS5_T3_llli: ; @_ZL20rocblas_hbmvn_kernelILi64ELi16E19rocblas_complex_numIdEPKS1_PS1_EvbiiT1_T2_lllS6_lllS5_T3_llli
; %bb.0:
	s_load_b64 s[2:3], s[0:1], 0xa4
	s_waitcnt lgkmcnt(0)
	s_lshr_b32 s4, s2, 16
	s_and_b32 s2, s2, 0xffff
	s_and_b32 s3, s3, 0xffff
	s_mul_i32 s4, s4, s2
	s_delay_alu instid0(SALU_CYCLE_1) | instskip(NEXT) | instid1(SALU_CYCLE_1)
	s_mul_i32 s4, s4, s3
	s_cmpk_lg_i32 s4, 0x400
	s_cbranch_scc1 .LBB3_52
; %bb.1:
	s_clause 0x1
	s_load_b512 s[36:51], s[0:1], 0x10
	s_load_b512 s[16:31], s[0:1], 0x50
	s_waitcnt lgkmcnt(0)
	v_cmp_neq_f64_e64 s3, s[36:37], 0
	v_cmp_neq_f64_e64 s4, s[38:39], 0
	s_delay_alu instid0(VALU_DEP_1)
	s_or_b32 s33, s3, s4
	s_mov_b32 s3, -1
	s_and_b32 vcc_lo, exec_lo, s33
	s_cbranch_vccnz .LBB3_3
; %bb.2:
	v_cmp_neq_f64_e64 s3, s[20:21], 1.0
	v_cmp_neq_f64_e64 s4, s[22:23], 0
	s_delay_alu instid0(VALU_DEP_1)
	s_or_b32 s3, s3, s4
.LBB3_3:
	s_delay_alu instid0(SALU_CYCLE_1)
	s_and_not1_b32 vcc_lo, exec_lo, s3
	s_cbranch_vccnz .LBB3_52
; %bb.4:
	s_load_b128 s[4:7], s[0:1], 0x0
	v_and_b32_e32 v1, 0x3ff, v0
	v_bfe_u32 v0, v0, 10, 10
	s_and_not1_b32 vcc_lo, exec_lo, s33
	s_delay_alu instid0(VALU_DEP_1)
	v_mad_u32_u24 v18, v0, s2, v1
	s_cbranch_vccnz .LBB3_37
; %bb.5:
	v_mov_b32_e32 v2, 0
	v_mov_b32_e32 v3, 0
	s_delay_alu instid0(VALU_DEP_3) | instskip(NEXT) | instid1(VALU_DEP_3)
	v_lshrrev_b32_e32 v19, 6, v18
	v_mov_b32_e32 v0, v2
	s_waitcnt lgkmcnt(0)
	s_mov_b32 s7, exec_lo
	v_mov_b32_e32 v1, v3
	v_cmpx_gt_i32_e64 s5, v19
	s_cbranch_execz .LBB3_36
; %bb.6:
	v_and_b32_e32 v9, 63, v18
	s_mul_i32 s0, s15, s47
	s_mul_hi_u32 s1, s15, s46
	s_lshl_b32 s47, s14, 6
	s_add_i32 s1, s1, s0
	s_mul_i32 s0, s15, s46
	v_or_b32_e32 v4, s47, v9
	v_add3_u32 v2, s6, s47, v9
	s_lshl_b64 s[2:3], s[0:1], 4
	s_lshl_b64 s[8:9], s[42:43], 4
	s_add_u32 s42, s40, s2
	s_addc_u32 s43, s41, s3
	s_add_u32 s46, s42, s8
	v_mad_u64_u32 v[0:1], null, s16, v19, 0
	v_ashrrev_i32_e32 v5, 31, v4
	v_sub_nc_u32_e32 v6, v2, v19
	v_mad_u64_u32 v[2:3], null, v4, s44, 0
	s_addc_u32 s52, s43, s9
	s_bitcmp1_b32 s4, 0
	v_mul_lo_u32 v10, v5, s44
	s_cselect_b32 s1, -1, 0
	v_mul_lo_u32 v11, v4, s45
	s_and_b32 s4, s1, exec_lo
	s_cselect_b32 s53, s6, 0
	s_xor_b32 s4, s1, -1
	v_mad_u64_u32 v[7:8], null, s17, v19, v[1:2]
	s_cmp_eq_u32 s6, 0
	s_mul_hi_u32 s11, s18, s15
	s_cselect_b32 s10, -1, 0
	v_add3_u32 v3, v3, v11, v10
	s_or_b32 s35, s10, s4
	s_mul_i32 s10, s19, s15
	v_sub_nc_u32_e32 v12, v4, v19
	s_add_i32 s11, s11, s10
	s_mul_i32 s10, s18, s15
	s_lshl_b64 s[12:13], s[50:51], 4
	v_mov_b32_e32 v1, v7
	s_lshl_b64 s[10:11], s[10:11], 4
	s_add_u32 s12, s48, s12
	v_lshlrev_b64 v[2:3], 4, v[2:3]
	s_addc_u32 s13, s49, s13
	v_cndmask_b32_e64 v20, v12, v6, s1
	s_add_u32 s18, s12, s10
	v_mad_u64_u32 v[12:13], null, s44, v19, 0
	s_addc_u32 s19, s13, s11
	s_lshl_b64 s[10:11], s[16:17], 8
	s_lshl_b64 s[16:17], s[44:45], 4
	v_lshlrev_b64 v[0:1], 4, v[0:1]
	s_lshl_b64 s[12:13], s[44:45], 8
	s_add_u32 s16, s16, -16
	v_add_co_u32 v21, vcc_lo, s46, v2
	v_mad_u64_u32 v[7:8], null, v19, s16, s[2:3]
	v_add_co_ci_u32_e32 v22, vcc_lo, s52, v3, vcc_lo
	v_mov_b32_e32 v2, v13
	v_add_co_u32 v3, vcc_lo, s18, v0
	v_add_co_ci_u32_e32 v13, vcc_lo, s19, v1, vcc_lo
	v_mov_b32_e32 v0, v8
	s_delay_alu instid0(VALU_DEP_3) | instskip(SKIP_2) | instid1(VALU_DEP_3)
	v_mad_u64_u32 v[10:11], null, s45, v19, v[2:3]
	s_addc_u32 s2, s17, -1
	v_add_co_u32 v8, vcc_lo, v3, 8
	v_mad_u64_u32 v[1:2], null, v19, s2, v[0:1]
	v_sub_nc_u32_e32 v14, s53, v9
	v_add_co_ci_u32_e32 v9, vcc_lo, 0, v13, vcc_lo
	v_mov_b32_e32 v13, v10
	v_lshlrev_b64 v[2:3], 4, v[4:5]
	v_dual_mov_b32 v11, 0 :: v_dual_mov_b32 v10, v1
	v_cmp_gt_i32_e64 s0, s5, v4
	s_delay_alu instid0(VALU_DEP_4) | instskip(SKIP_3) | instid1(VALU_DEP_4)
	v_lshlrev_b64 v[0:1], 4, v[12:13]
	v_subrev_nc_u32_e32 v5, s47, v14
	v_add_co_u32 v2, vcc_lo, v7, v2
	v_add_co_ci_u32_e32 v3, vcc_lo, v10, v3, vcc_lo
	v_add_co_u32 v23, vcc_lo, s42, v0
	v_add_co_ci_u32_e32 v24, vcc_lo, s43, v1, vcc_lo
	s_delay_alu instid0(VALU_DEP_4) | instskip(NEXT) | instid1(VALU_DEP_4)
	v_add_co_u32 v0, vcc_lo, v2, s40
	v_add_co_ci_u32_e32 v1, vcc_lo, s41, v3, vcc_lo
	v_mov_b32_e32 v2, 0
	v_mov_b32_e32 v3, 0
	v_add_co_u32 v25, vcc_lo, v23, 8
	v_add_co_ci_u32_e32 v26, vcc_lo, 0, v24, vcc_lo
	v_add_co_u32 v27, vcc_lo, v0, 8
	v_add_co_ci_u32_e32 v28, vcc_lo, 0, v1, vcc_lo
	v_dual_mov_b32 v0, v2 :: v_dual_mov_b32 v1, v3
	s_add_u32 s3, s12, 0xffffff00
	s_mov_b32 s34, 0
	s_addc_u32 s18, s13, -1
	s_mov_b64 s[16:17], 0
	s_branch .LBB3_10
.LBB3_7:                                ;   in Loop: Header=BB3_10 Depth=1
	s_or_b32 exec_lo, exec_lo, s2
.LBB3_8:                                ;   in Loop: Header=BB3_10 Depth=1
	s_delay_alu instid0(SALU_CYCLE_1)
	s_or_b32 exec_lo, exec_lo, s40
.LBB3_9:                                ;   in Loop: Header=BB3_10 Depth=1
	s_delay_alu instid0(SALU_CYCLE_1)
	s_or_b32 exec_lo, exec_lo, s19
	v_add_co_u32 v8, vcc_lo, v8, s10
	v_add_co_ci_u32_e32 v9, vcc_lo, s11, v9, vcc_lo
	v_add_co_u32 v25, vcc_lo, v25, s12
	v_add_nc_u32_e32 v19, 16, v19
	v_add_co_ci_u32_e32 v26, vcc_lo, s13, v26, vcc_lo
	v_add_co_u32 v23, vcc_lo, v23, s12
	v_add_co_ci_u32_e32 v24, vcc_lo, s13, v24, vcc_lo
	s_delay_alu instid0(VALU_DEP_4)
	v_cmp_le_i32_e32 vcc_lo, s5, v19
	v_add_co_u32 v27, s2, v27, s3
	v_add_nc_u32_e32 v6, -16, v6
	v_add_co_ci_u32_e64 v28, s2, s18, v28, s2
	s_add_u32 s16, s16, -16
	s_addc_u32 s17, s17, -1
	s_or_b32 s34, vcc_lo, s34
	s_delay_alu instid0(SALU_CYCLE_1)
	s_and_not1_b32 exec_lo, exec_lo, s34
	s_cbranch_execz .LBB3_35
.LBB3_10:                               ; =>This Inner Loop Header: Depth=1
	s_and_saveexec_b32 s19, s0
	s_cbranch_execz .LBB3_9
; %bb.11:                               ;   in Loop: Header=BB3_10 Depth=1
	v_cmp_lt_i32_e32 vcc_lo, v19, v4
	v_cmp_gt_i32_e64 s2, v19, v4
	s_or_b32 s40, vcc_lo, s4
	s_delay_alu instid0(VALU_DEP_1) | instskip(NEXT) | instid1(SALU_CYCLE_1)
	s_or_b32 s2, s2, s1
	s_and_b32 s2, s40, s2
	s_delay_alu instid0(SALU_CYCLE_1) | instskip(NEXT) | instid1(SALU_CYCLE_1)
	s_xor_b32 s2, s2, -1
	s_and_saveexec_b32 s40, s2
	s_delay_alu instid0(SALU_CYCLE_1)
	s_xor_b32 s40, exec_lo, s40
	s_cbranch_execz .LBB3_32
; %bb.12:                               ;   in Loop: Header=BB3_10 Depth=1
	v_add_nc_u32_e32 v10, s16, v20
	s_delay_alu instid0(VALU_DEP_1) | instskip(SKIP_1) | instid1(VALU_DEP_1)
	v_cmp_le_i32_e32 vcc_lo, s6, v10
	v_cmp_gt_i32_e64 s2, 1, v10
	s_or_b32 s2, vcc_lo, s2
	s_delay_alu instid0(SALU_CYCLE_1) | instskip(NEXT) | instid1(SALU_CYCLE_1)
	s_and_saveexec_b32 s41, s2
	s_xor_b32 s2, exec_lo, s41
	s_cbranch_execz .LBB3_29
; %bb.13:                               ;   in Loop: Header=BB3_10 Depth=1
	s_mov_b32 s41, exec_lo
	v_cmpx_ne_u32_e32 0, v10
	s_xor_b32 s41, exec_lo, s41
	s_cbranch_execz .LBB3_22
; %bb.14:                               ;   in Loop: Header=BB3_10 Depth=1
	s_mov_b32 s42, exec_lo
	v_cmpx_eq_u32_e64 s6, v10
	s_cbranch_execz .LBB3_21
; %bb.15:                               ;   in Loop: Header=BB3_10 Depth=1
	s_and_b32 vcc_lo, exec_lo, s4
	s_cbranch_vccz .LBB3_17
; %bb.16:                               ;   in Loop: Header=BB3_10 Depth=1
	v_add_co_u32 v16, vcc_lo, v27, s8
	v_add_co_ci_u32_e32 v17, vcc_lo, s9, v28, vcc_lo
	s_mov_b32 s43, 0
	global_load_b128 v[12:15], v[8:9], off offset:-8
	global_load_b128 v[29:32], v[16:17], off offset:-8
	s_waitcnt vmcnt(0)
	v_mul_f64 v[16:17], v[14:15], v[31:32]
	v_mul_f64 v[31:32], v[12:13], v[31:32]
	s_delay_alu instid0(VALU_DEP_2) | instskip(NEXT) | instid1(VALU_DEP_2)
	v_fma_f64 v[12:13], v[12:13], v[29:30], -v[16:17]
	v_fma_f64 v[14:15], v[14:15], v[29:30], v[31:32]
	s_delay_alu instid0(VALU_DEP_2) | instskip(NEXT) | instid1(VALU_DEP_2)
	v_add_f64 v[12:13], v[0:1], v[12:13]
	v_add_f64 v[14:15], v[2:3], v[14:15]
	s_branch .LBB3_18
.LBB3_17:                               ;   in Loop: Header=BB3_10 Depth=1
	s_mov_b32 s43, -1
                                        ; implicit-def: $vgpr14_vgpr15
                                        ; implicit-def: $vgpr12_vgpr13
.LBB3_18:                               ;   in Loop: Header=BB3_10 Depth=1
	s_delay_alu instid0(SALU_CYCLE_1)
	s_and_not1_b32 vcc_lo, exec_lo, s43
	s_cbranch_vccnz .LBB3_20
; %bb.19:                               ;   in Loop: Header=BB3_10 Depth=1
	v_ashrrev_i32_e32 v7, 31, v6
	s_delay_alu instid0(VALU_DEP_1) | instskip(NEXT) | instid1(VALU_DEP_1)
	v_lshlrev_b64 v[12:13], 4, v[6:7]
	v_add_co_u32 v7, vcc_lo, v23, v12
	s_delay_alu instid0(VALU_DEP_2) | instskip(NEXT) | instid1(VALU_DEP_2)
	v_add_co_ci_u32_e32 v10, vcc_lo, v24, v13, vcc_lo
	v_add_co_u32 v16, vcc_lo, v7, s8
	s_delay_alu instid0(VALU_DEP_2)
	v_add_co_ci_u32_e32 v17, vcc_lo, s9, v10, vcc_lo
	global_load_b128 v[12:15], v[8:9], off offset:-8
	global_load_b64 v[16:17], v[16:17], off
	s_waitcnt vmcnt(0)
	v_fma_f64 v[12:13], v[16:17], v[12:13], v[0:1]
	v_fma_f64 v[14:15], v[16:17], v[14:15], v[2:3]
.LBB3_20:                               ;   in Loop: Header=BB3_10 Depth=1
	s_delay_alu instid0(VALU_DEP_1) | instskip(NEXT) | instid1(VALU_DEP_3)
	v_dual_mov_b32 v2, v14 :: v_dual_mov_b32 v3, v15
	v_dual_mov_b32 v0, v12 :: v_dual_mov_b32 v1, v13
.LBB3_21:                               ;   in Loop: Header=BB3_10 Depth=1
	s_or_b32 exec_lo, exec_lo, s42
.LBB3_22:                               ;   in Loop: Header=BB3_10 Depth=1
	s_and_not1_saveexec_b32 s41, s41
	s_cbranch_execz .LBB3_28
; %bb.23:                               ;   in Loop: Header=BB3_10 Depth=1
	v_add_co_u32 v12, vcc_lo, v25, s8
	v_add_co_ci_u32_e32 v13, vcc_lo, s9, v26, vcc_lo
	s_and_not1_b32 vcc_lo, exec_lo, s35
	s_cbranch_vccnz .LBB3_25
; %bb.24:                               ;   in Loop: Header=BB3_10 Depth=1
	global_load_b64 v[29:30], v[12:13], off offset:-8
	global_load_b128 v[14:17], v[8:9], off offset:-8
	s_waitcnt vmcnt(0)
	v_fma_f64 v[14:15], v[29:30], v[14:15], v[0:1]
	v_fma_f64 v[16:17], v[29:30], v[16:17], v[2:3]
	s_cbranch_execz .LBB3_26
	s_branch .LBB3_27
.LBB3_25:                               ;   in Loop: Header=BB3_10 Depth=1
                                        ; implicit-def: $vgpr16_vgpr17
                                        ; implicit-def: $vgpr14_vgpr15
.LBB3_26:                               ;   in Loop: Header=BB3_10 Depth=1
	global_load_b128 v[14:17], v[8:9], off offset:-8
	global_load_b128 v[29:32], v[12:13], off offset:-8
	s_waitcnt vmcnt(0)
	v_mul_f64 v[12:13], v[16:17], v[31:32]
	v_mul_f64 v[31:32], v[14:15], v[31:32]
	s_delay_alu instid0(VALU_DEP_2) | instskip(NEXT) | instid1(VALU_DEP_2)
	v_fma_f64 v[12:13], v[14:15], v[29:30], -v[12:13]
	v_fma_f64 v[16:17], v[16:17], v[29:30], v[31:32]
	s_delay_alu instid0(VALU_DEP_2) | instskip(NEXT) | instid1(VALU_DEP_2)
	v_add_f64 v[14:15], v[0:1], v[12:13]
	v_add_f64 v[16:17], v[2:3], v[16:17]
.LBB3_27:                               ;   in Loop: Header=BB3_10 Depth=1
	s_delay_alu instid0(VALU_DEP_1) | instskip(NEXT) | instid1(VALU_DEP_3)
	v_dual_mov_b32 v2, v16 :: v_dual_mov_b32 v3, v17
	v_dual_mov_b32 v0, v14 :: v_dual_mov_b32 v1, v15
.LBB3_28:                               ;   in Loop: Header=BB3_10 Depth=1
	s_or_b32 exec_lo, exec_lo, s41
.LBB3_29:                               ;   in Loop: Header=BB3_10 Depth=1
	s_and_not1_saveexec_b32 s2, s2
	s_cbranch_execz .LBB3_31
; %bb.30:                               ;   in Loop: Header=BB3_10 Depth=1
	v_lshlrev_b64 v[12:13], 4, v[10:11]
	v_add_co_u32 v7, vcc_lo, v25, s8
	v_add_co_ci_u32_e32 v10, vcc_lo, s9, v26, vcc_lo
	s_delay_alu instid0(VALU_DEP_2) | instskip(NEXT) | instid1(VALU_DEP_2)
	v_add_co_u32 v16, vcc_lo, v7, v12
	v_add_co_ci_u32_e32 v17, vcc_lo, v10, v13, vcc_lo
	global_load_b128 v[12:15], v[8:9], off offset:-8
	global_load_b128 v[29:32], v[16:17], off offset:-8
	s_waitcnt vmcnt(0)
	v_mul_f64 v[16:17], v[14:15], v[31:32]
	v_mul_f64 v[31:32], v[12:13], v[31:32]
	s_delay_alu instid0(VALU_DEP_2) | instskip(NEXT) | instid1(VALU_DEP_2)
	v_fma_f64 v[12:13], v[12:13], v[29:30], -v[16:17]
	v_fma_f64 v[14:15], v[14:15], v[29:30], v[31:32]
	s_delay_alu instid0(VALU_DEP_2) | instskip(NEXT) | instid1(VALU_DEP_2)
	v_add_f64 v[0:1], v[0:1], v[12:13]
	v_add_f64 v[2:3], v[2:3], v[14:15]
.LBB3_31:                               ;   in Loop: Header=BB3_10 Depth=1
	s_or_b32 exec_lo, exec_lo, s2
.LBB3_32:                               ;   in Loop: Header=BB3_10 Depth=1
	s_and_not1_saveexec_b32 s40, s40
	s_cbranch_execz .LBB3_8
; %bb.33:                               ;   in Loop: Header=BB3_10 Depth=1
	v_add_nc_u32_e32 v10, v5, v19
	s_delay_alu instid0(VALU_DEP_1) | instskip(SKIP_1) | instid1(VALU_DEP_1)
	v_cmp_ge_i32_e32 vcc_lo, s6, v10
	v_cmp_lt_i32_e64 s2, -1, v10
	s_and_b32 s41, vcc_lo, s2
	s_delay_alu instid0(SALU_CYCLE_1)
	s_and_saveexec_b32 s2, s41
	s_cbranch_execz .LBB3_7
; %bb.34:                               ;   in Loop: Header=BB3_10 Depth=1
	v_lshlrev_b64 v[12:13], 4, v[10:11]
	s_delay_alu instid0(VALU_DEP_1) | instskip(NEXT) | instid1(VALU_DEP_2)
	v_add_co_u32 v16, vcc_lo, v21, v12
	v_add_co_ci_u32_e32 v17, vcc_lo, v22, v13, vcc_lo
	global_load_b128 v[12:15], v[8:9], off offset:-8
	global_load_b128 v[29:32], v[16:17], off
	s_waitcnt vmcnt(0)
	v_mul_f64 v[16:17], v[31:32], v[14:15]
	v_mul_f64 v[31:32], v[31:32], v[12:13]
	s_delay_alu instid0(VALU_DEP_2) | instskip(NEXT) | instid1(VALU_DEP_2)
	v_fma_f64 v[12:13], v[29:30], v[12:13], v[16:17]
	v_fma_f64 v[14:15], v[29:30], v[14:15], -v[31:32]
	s_delay_alu instid0(VALU_DEP_2) | instskip(NEXT) | instid1(VALU_DEP_2)
	v_add_f64 v[0:1], v[0:1], v[12:13]
	v_add_f64 v[2:3], v[2:3], v[14:15]
	s_branch .LBB3_7
.LBB3_35:
	s_or_b32 exec_lo, exec_lo, s34
.LBB3_36:
	s_delay_alu instid0(SALU_CYCLE_1)
	s_or_b32 exec_lo, exec_lo, s7
	v_lshlrev_b32_e32 v4, 4, v18
	ds_store_b128 v4, v[0:3]
	s_waitcnt lgkmcnt(0)
	s_barrier
	buffer_gl0_inv
.LBB3_37:
	s_mov_b32 s0, exec_lo
	s_delay_alu instid0(VALU_DEP_1)
	v_cmpx_gt_u32_e32 64, v18
	s_cbranch_execz .LBB3_52
; %bb.38:
	s_mul_i32 s1, s15, s31
	s_mul_hi_u32 s2, s15, s30
	s_mul_i32 s0, s15, s30
	s_add_i32 s1, s2, s1
	v_lshl_or_b32 v10, s14, 6, v18
	s_lshl_b64 s[0:1], s[0:1], 4
	s_waitcnt lgkmcnt(0)
	s_xor_b32 s4, s33, -1
	s_add_u32 s0, s24, s0
	s_addc_u32 s6, s25, s1
	s_lshl_b64 s[2:3], s[26:27], 4
	s_delay_alu instid0(SALU_CYCLE_1)
	s_add_u32 s1, s0, s2
	v_cmp_gt_i32_e64 s0, s5, v10
	s_addc_u32 s2, s6, s3
	s_and_b32 vcc_lo, exec_lo, s4
	s_cbranch_vccz .LBB3_44
; %bb.39:
	s_mov_b32 s4, 0
	s_mov_b32 s3, 0
                                        ; implicit-def: $vgpr2_vgpr3
                                        ; implicit-def: $vgpr8_vgpr9
	s_and_saveexec_b32 s6, s0
	s_delay_alu instid0(SALU_CYCLE_1)
	s_xor_b32 s0, exec_lo, s6
	s_cbranch_execz .LBB3_43
; %bb.40:
	v_cmp_neq_f64_e64 s3, s[20:21], 0
	v_cmp_neq_f64_e64 s6, s[22:23], 0
	v_ashrrev_i32_e32 v0, 31, v10
	v_mul_lo_u32 v1, v10, s29
	v_mad_u64_u32 v[8:9], null, v10, s28, 0
	v_mov_b32_e32 v2, 0
	s_delay_alu instid0(VALU_DEP_4) | instskip(SKIP_1) | instid1(VALU_DEP_2)
	v_mul_lo_u32 v0, v0, s28
	v_mov_b32_e32 v3, 0
	v_add3_u32 v9, v9, v1, v0
	s_delay_alu instid0(VALU_DEP_2) | instskip(SKIP_1) | instid1(SALU_CYCLE_1)
	v_dual_mov_b32 v0, v2 :: v_dual_mov_b32 v1, v3
	s_or_b32 s3, s3, s6
	s_and_not1_b32 vcc_lo, exec_lo, s3
	s_cbranch_vccnz .LBB3_42
; %bb.41:
	v_lshlrev_b64 v[0:1], 4, v[8:9]
	s_delay_alu instid0(VALU_DEP_1) | instskip(NEXT) | instid1(VALU_DEP_2)
	v_add_co_u32 v0, vcc_lo, s1, v0
	v_add_co_ci_u32_e32 v1, vcc_lo, s2, v1, vcc_lo
	global_load_b128 v[2:5], v[0:1], off
	s_waitcnt vmcnt(0)
	v_mul_f64 v[0:1], s[22:23], v[4:5]
	v_mul_f64 v[4:5], s[20:21], v[4:5]
	s_delay_alu instid0(VALU_DEP_2) | instskip(NEXT) | instid1(VALU_DEP_2)
	v_fma_f64 v[0:1], s[20:21], v[2:3], -v[0:1]
	v_fma_f64 v[2:3], s[22:23], v[2:3], v[4:5]
.LBB3_42:
	s_mov_b32 s3, exec_lo
.LBB3_43:
	s_or_b32 exec_lo, exec_lo, s0
	s_delay_alu instid0(SALU_CYCLE_1)
	s_and_b32 vcc_lo, exec_lo, s4
	s_cbranch_vccnz .LBB3_45
	s_branch .LBB3_50
.LBB3_44:
	s_mov_b32 s3, 0
                                        ; implicit-def: $vgpr2_vgpr3
                                        ; implicit-def: $vgpr8_vgpr9
	s_cbranch_execz .LBB3_50
.LBB3_45:
	v_lshlrev_b32_e32 v13, 4, v18
	s_mov_b32 s0, exec_lo
	ds_load_b128 v[0:3], v13
	ds_load_b128 v[4:7], v13 offset:1024
	s_waitcnt lgkmcnt(0)
	v_add_f64 v[8:9], v[0:1], v[4:5]
	v_add_f64 v[11:12], v[2:3], v[6:7]
	ds_load_b128 v[0:3], v13 offset:2048
	ds_load_b128 v[4:7], v13 offset:3072
	s_waitcnt lgkmcnt(1)
	v_add_f64 v[0:1], v[8:9], v[0:1]
	v_add_f64 v[2:3], v[11:12], v[2:3]
	s_waitcnt lgkmcnt(0)
	s_delay_alu instid0(VALU_DEP_2) | instskip(NEXT) | instid1(VALU_DEP_2)
	v_add_f64 v[8:9], v[0:1], v[4:5]
	v_add_f64 v[11:12], v[2:3], v[6:7]
	ds_load_b128 v[0:3], v13 offset:4096
	ds_load_b128 v[4:7], v13 offset:5120
	s_waitcnt lgkmcnt(1)
	v_add_f64 v[0:1], v[8:9], v[0:1]
	v_add_f64 v[2:3], v[11:12], v[2:3]
	s_waitcnt lgkmcnt(0)
	s_delay_alu instid0(VALU_DEP_2) | instskip(NEXT) | instid1(VALU_DEP_2)
	;; [unrolled: 9-line block ×6, first 2 shown]
	v_add_f64 v[8:9], v[0:1], v[4:5]
	v_add_f64 v[11:12], v[2:3], v[6:7]
	ds_load_b128 v[0:3], v13 offset:14336
	ds_load_b128 v[4:7], v13 offset:15360
	s_waitcnt lgkmcnt(1)
	v_add_f64 v[0:1], v[8:9], v[0:1]
	v_add_f64 v[2:3], v[11:12], v[2:3]
                                        ; implicit-def: $vgpr8_vgpr9
	s_waitcnt lgkmcnt(0)
	s_delay_alu instid0(VALU_DEP_2) | instskip(NEXT) | instid1(VALU_DEP_2)
	v_add_f64 v[4:5], v[0:1], v[4:5]
	v_add_f64 v[6:7], v[2:3], v[6:7]
                                        ; implicit-def: $vgpr2_vgpr3
	ds_store_b128 v13, v[4:7]
	v_cmpx_gt_i32_e64 s5, v10
	s_cbranch_execz .LBB3_49
; %bb.46:
	v_mul_f64 v[0:1], s[38:39], v[6:7]
	v_mul_f64 v[2:3], s[36:37], v[6:7]
	v_cmp_neq_f64_e64 s4, s[20:21], 0
	v_cmp_neq_f64_e64 s5, s[22:23], 0
	v_mad_u64_u32 v[8:9], null, v10, s28, 0
	v_fma_f64 v[0:1], s[36:37], v[4:5], -v[0:1]
	v_fma_f64 v[2:3], s[38:39], v[4:5], v[2:3]
	v_ashrrev_i32_e32 v4, 31, v10
	v_mul_lo_u32 v5, v10, s29
	s_or_b32 s4, s4, s5
	s_delay_alu instid0(SALU_CYCLE_1) | instskip(NEXT) | instid1(VALU_DEP_2)
	s_and_not1_b32 vcc_lo, exec_lo, s4
	v_mul_lo_u32 v4, v4, s28
	s_delay_alu instid0(VALU_DEP_1)
	v_add3_u32 v9, v9, v5, v4
	s_cbranch_vccnz .LBB3_48
; %bb.47:
	s_delay_alu instid0(VALU_DEP_1) | instskip(NEXT) | instid1(VALU_DEP_1)
	v_lshlrev_b64 v[4:5], 4, v[8:9]
	v_add_co_u32 v4, vcc_lo, s1, v4
	s_delay_alu instid0(VALU_DEP_2) | instskip(SKIP_4) | instid1(VALU_DEP_2)
	v_add_co_ci_u32_e32 v5, vcc_lo, s2, v5, vcc_lo
	global_load_b128 v[4:7], v[4:5], off
	s_waitcnt vmcnt(0)
	v_mul_f64 v[10:11], s[22:23], v[6:7]
	v_mul_f64 v[6:7], s[20:21], v[6:7]
	v_fma_f64 v[10:11], s[20:21], v[4:5], -v[10:11]
	s_delay_alu instid0(VALU_DEP_2) | instskip(NEXT) | instid1(VALU_DEP_2)
	v_fma_f64 v[4:5], s[22:23], v[4:5], v[6:7]
	v_add_f64 v[0:1], v[0:1], v[10:11]
	s_delay_alu instid0(VALU_DEP_2)
	v_add_f64 v[2:3], v[2:3], v[4:5]
.LBB3_48:
	s_or_b32 s3, s3, exec_lo
.LBB3_49:
	s_or_b32 exec_lo, exec_lo, s0
.LBB3_50:
	s_delay_alu instid0(SALU_CYCLE_1)
	s_and_b32 exec_lo, exec_lo, s3
	s_cbranch_execz .LBB3_52
; %bb.51:
	v_lshlrev_b64 v[4:5], 4, v[8:9]
	s_delay_alu instid0(VALU_DEP_1) | instskip(NEXT) | instid1(VALU_DEP_2)
	v_add_co_u32 v4, vcc_lo, s1, v4
	v_add_co_ci_u32_e32 v5, vcc_lo, s2, v5, vcc_lo
	global_store_b128 v[4:5], v[0:3], off
.LBB3_52:
	s_nop 0
	s_sendmsg sendmsg(MSG_DEALLOC_VGPRS)
	s_endpgm
	.section	.rodata,"a",@progbits
	.p2align	6, 0x0
	.amdhsa_kernel _ZL20rocblas_hbmvn_kernelILi64ELi16E19rocblas_complex_numIdEPKS1_PS1_EvbiiT1_T2_lllS6_lllS5_T3_llli
		.amdhsa_group_segment_fixed_size 16384
		.amdhsa_private_segment_fixed_size 0
		.amdhsa_kernarg_size 408
		.amdhsa_user_sgpr_count 14
		.amdhsa_user_sgpr_dispatch_ptr 0
		.amdhsa_user_sgpr_queue_ptr 0
		.amdhsa_user_sgpr_kernarg_segment_ptr 1
		.amdhsa_user_sgpr_dispatch_id 0
		.amdhsa_user_sgpr_private_segment_size 0
		.amdhsa_wavefront_size32 1
		.amdhsa_uses_dynamic_stack 0
		.amdhsa_enable_private_segment 0
		.amdhsa_system_sgpr_workgroup_id_x 1
		.amdhsa_system_sgpr_workgroup_id_y 0
		.amdhsa_system_sgpr_workgroup_id_z 1
		.amdhsa_system_sgpr_workgroup_info 0
		.amdhsa_system_vgpr_workitem_id 1
		.amdhsa_next_free_vgpr 33
		.amdhsa_next_free_sgpr 54
		.amdhsa_reserve_vcc 1
		.amdhsa_float_round_mode_32 0
		.amdhsa_float_round_mode_16_64 0
		.amdhsa_float_denorm_mode_32 3
		.amdhsa_float_denorm_mode_16_64 3
		.amdhsa_dx10_clamp 1
		.amdhsa_ieee_mode 1
		.amdhsa_fp16_overflow 0
		.amdhsa_workgroup_processor_mode 1
		.amdhsa_memory_ordered 1
		.amdhsa_forward_progress 0
		.amdhsa_shared_vgpr_count 0
		.amdhsa_exception_fp_ieee_invalid_op 0
		.amdhsa_exception_fp_denorm_src 0
		.amdhsa_exception_fp_ieee_div_zero 0
		.amdhsa_exception_fp_ieee_overflow 0
		.amdhsa_exception_fp_ieee_underflow 0
		.amdhsa_exception_fp_ieee_inexact 0
		.amdhsa_exception_int_div_zero 0
	.end_amdhsa_kernel
	.section	.text._ZL20rocblas_hbmvn_kernelILi64ELi16E19rocblas_complex_numIdEPKS1_PS1_EvbiiT1_T2_lllS6_lllS5_T3_llli,"axG",@progbits,_ZL20rocblas_hbmvn_kernelILi64ELi16E19rocblas_complex_numIdEPKS1_PS1_EvbiiT1_T2_lllS6_lllS5_T3_llli,comdat
.Lfunc_end3:
	.size	_ZL20rocblas_hbmvn_kernelILi64ELi16E19rocblas_complex_numIdEPKS1_PS1_EvbiiT1_T2_lllS6_lllS5_T3_llli, .Lfunc_end3-_ZL20rocblas_hbmvn_kernelILi64ELi16E19rocblas_complex_numIdEPKS1_PS1_EvbiiT1_T2_lllS6_lllS5_T3_llli
                                        ; -- End function
	.section	.AMDGPU.csdata,"",@progbits
; Kernel info:
; codeLenInByte = 2720
; NumSgprs: 56
; NumVgprs: 33
; ScratchSize: 0
; MemoryBound: 1
; FloatMode: 240
; IeeeMode: 1
; LDSByteSize: 16384 bytes/workgroup (compile time only)
; SGPRBlocks: 6
; VGPRBlocks: 4
; NumSGPRsForWavesPerEU: 56
; NumVGPRsForWavesPerEU: 33
; Occupancy: 16
; WaveLimiterHint : 0
; COMPUTE_PGM_RSRC2:SCRATCH_EN: 0
; COMPUTE_PGM_RSRC2:USER_SGPR: 14
; COMPUTE_PGM_RSRC2:TRAP_HANDLER: 0
; COMPUTE_PGM_RSRC2:TGID_X_EN: 1
; COMPUTE_PGM_RSRC2:TGID_Y_EN: 0
; COMPUTE_PGM_RSRC2:TGID_Z_EN: 1
; COMPUTE_PGM_RSRC2:TIDIG_COMP_CNT: 1
	.section	.text._ZL20rocblas_hbmvn_kernelILi64ELi16EPK19rocblas_complex_numIfEPKS3_PKPS1_EvbiiT1_T2_lllSA_lllS9_T3_llli,"axG",@progbits,_ZL20rocblas_hbmvn_kernelILi64ELi16EPK19rocblas_complex_numIfEPKS3_PKPS1_EvbiiT1_T2_lllSA_lllS9_T3_llli,comdat
	.globl	_ZL20rocblas_hbmvn_kernelILi64ELi16EPK19rocblas_complex_numIfEPKS3_PKPS1_EvbiiT1_T2_lllSA_lllS9_T3_llli ; -- Begin function _ZL20rocblas_hbmvn_kernelILi64ELi16EPK19rocblas_complex_numIfEPKS3_PKPS1_EvbiiT1_T2_lllSA_lllS9_T3_llli
	.p2align	8
	.type	_ZL20rocblas_hbmvn_kernelILi64ELi16EPK19rocblas_complex_numIfEPKS3_PKPS1_EvbiiT1_T2_lllSA_lllS9_T3_llli,@function
_ZL20rocblas_hbmvn_kernelILi64ELi16EPK19rocblas_complex_numIfEPKS3_PKPS1_EvbiiT1_T2_lllSA_lllS9_T3_llli: ; @_ZL20rocblas_hbmvn_kernelILi64ELi16EPK19rocblas_complex_numIfEPKS3_PKPS1_EvbiiT1_T2_lllSA_lllS9_T3_llli
; %bb.0:
	s_load_b64 s[2:3], s[0:1], 0x94
	s_waitcnt lgkmcnt(0)
	s_lshr_b32 s4, s2, 16
	s_and_b32 s30, s2, 0xffff
	s_and_b32 s2, s3, 0xffff
	s_mul_i32 s3, s4, s30
	s_delay_alu instid0(SALU_CYCLE_1) | instskip(NEXT) | instid1(SALU_CYCLE_1)
	s_mul_i32 s3, s3, s2
	s_cmpk_lg_i32 s3, 0x400
	s_cbranch_scc1 .LBB4_55
; %bb.1:
	s_clause 0x1
	s_load_b256 s[16:23], s[0:1], 0x10
	s_load_b256 s[4:11], s[0:1], 0x58
	s_mov_b32 s28, s15
	s_waitcnt lgkmcnt(0)
	s_load_b64 s[24:25], s[16:17], 0x0
	s_load_b64 s[12:13], s[4:5], 0x0
	s_waitcnt lgkmcnt(0)
	v_cmp_neq_f32_e64 s2, s24, 0
	v_cmp_neq_f32_e64 s3, s25, 0
	s_delay_alu instid0(VALU_DEP_1) | instskip(NEXT) | instid1(SALU_CYCLE_1)
	s_or_b32 s2, s2, s3
	s_and_b32 vcc_lo, exec_lo, s2
	s_mov_b32 s2, -1
	s_cbranch_vccnz .LBB4_3
; %bb.2:
	v_cmp_neq_f32_e64 s2, s12, 1.0
	v_cmp_neq_f32_e64 s3, s13, 0
	s_delay_alu instid0(VALU_DEP_1)
	s_or_b32 s2, s2, s3
.LBB4_3:
	s_delay_alu instid0(SALU_CYCLE_1)
	s_and_not1_b32 vcc_lo, exec_lo, s2
	s_cbranch_vccnz .LBB4_55
; %bb.4:
	s_or_b32 s2, s24, s25
	s_mov_b32 s29, 0
	s_and_b32 s3, s2, 0x7fffffff
	s_delay_alu instid0(SALU_CYCLE_1)
	s_cmp_lg_u32 s3, 0
	s_cselect_b32 s2, -1, 0
	s_cmp_eq_u32 s3, 0
	s_cselect_b32 s15, -1, 0
	s_and_b32 vcc_lo, exec_lo, s2
	s_cbranch_vccnz .LBB4_6
; %bb.5:
	s_mov_b64 s[26:27], 0
	s_and_not1_b32 vcc_lo, exec_lo, s29
	s_cbranch_vccz .LBB4_7
	s_branch .LBB4_8
.LBB4_6:
	s_mov_b32 s29, -1
                                        ; implicit-def: $sgpr26_sgpr27
.LBB4_7:
	s_mov_b32 s29, 0
	s_delay_alu instid0(SALU_CYCLE_1) | instskip(NEXT) | instid1(SALU_CYCLE_1)
	s_lshl_b64 s[4:5], s[28:29], 3
	s_add_u32 s4, s18, s4
	s_addc_u32 s5, s19, s5
	s_lshl_b64 s[16:17], s[20:21], 3
	s_load_b64 s[4:5], s[4:5], 0x0
	s_waitcnt lgkmcnt(0)
	s_add_u32 s26, s4, s16
	s_addc_u32 s27, s5, s17
.LBB4_8:
	s_clause 0x1
	s_load_b128 s[16:19], s[0:1], 0x38
	s_load_b64 s[20:21], s[0:1], 0x48
	v_cndmask_b32_e64 v1, 0, 1, s2
	s_and_not1_b32 vcc_lo, exec_lo, s2
	s_mov_b64 s[2:3], 0
	s_cbranch_vccnz .LBB4_10
; %bb.9:
	s_lshl_b64 s[2:3], s[28:29], 3
	s_waitcnt lgkmcnt(0)
	s_add_u32 s2, s16, s2
	s_addc_u32 s3, s17, s3
	s_lshl_b64 s[4:5], s[18:19], 3
	s_load_b64 s[2:3], s[2:3], 0x0
	s_waitcnt lgkmcnt(0)
	s_add_u32 s2, s2, s4
	s_addc_u32 s3, s3, s5
.LBB4_10:
	s_lshl_b64 s[4:5], s[28:29], 3
	v_and_b32_e32 v2, 0x3ff, v0
	s_waitcnt lgkmcnt(0)
	s_add_u32 s16, s6, s4
	s_addc_u32 s17, s7, s5
	s_load_b128 s[4:7], s[0:1], 0x0
	s_load_b64 s[16:17], s[16:17], 0x0
	v_bfe_u32 v0, v0, 10, 10
	v_cmp_ne_u32_e32 vcc_lo, 1, v1
	s_delay_alu instid0(VALU_DEP_2)
	v_mad_u32_u24 v15, v0, s30, v2
	s_cbranch_vccnz .LBB4_43
; %bb.11:
	s_delay_alu instid0(VALU_DEP_1)
	v_lshrrev_b32_e32 v16, 6, v15
	v_dual_mov_b32 v8, 0 :: v_dual_mov_b32 v7, 0
	s_mov_b32 s28, 0
	s_waitcnt lgkmcnt(0)
	s_mov_b32 s7, exec_lo
	v_cmpx_gt_i32_e64 s5, v16
	s_cbranch_execz .LBB4_42
; %bb.12:
	v_mad_u64_u32 v[6:7], null, s20, v16, 0
	v_and_b32_e32 v14, 63, v15
	s_lshl_b32 s33, s14, 6
	s_bitcmp1_b32 s4, 0
	v_mad_u64_u32 v[8:9], null, s22, v16, 0
	s_delay_alu instid0(VALU_DEP_2) | instskip(SKIP_1) | instid1(SALU_CYCLE_1)
	v_or_b32_e32 v0, s33, v14
	s_cselect_b32 s0, -1, 0
	s_and_b32 s1, s0, exec_lo
	s_cselect_b32 s34, s6, 0
	s_delay_alu instid0(VALU_DEP_1) | instskip(SKIP_3) | instid1(VALU_DEP_4)
	v_ashrrev_i32_e32 v1, 31, v0
	v_mul_lo_u32 v5, v0, s23
	v_mad_u64_u32 v[3:4], null, v0, s22, 0
	v_sub_nc_u32_e32 v10, v0, v16
	v_mul_lo_u32 v11, v1, s22
	s_xor_b32 s4, s0, -1
	s_cmp_eq_u32 s6, 0
	v_lshlrev_b64 v[12:13], 3, v[0:1]
	s_cselect_b32 s18, -1, 0
	v_mov_b32_e32 v1, v9
	s_lshl_b64 s[30:31], s[22:23], 3
	s_or_b32 s29, s18, s4
	v_add3_u32 v4, v4, v5, v11
	v_mov_b32_e32 v5, v7
	v_add3_u32 v2, s6, s33, v14
	s_lshl_b64 s[18:19], s[20:21], 7
	v_cmp_gt_i32_e64 s1, s5, v0
	s_delay_alu instid0(VALU_DEP_2) | instskip(NEXT) | instid1(VALU_DEP_1)
	v_sub_nc_u32_e32 v2, v2, v16
	v_cndmask_b32_e64 v17, v10, v2, s0
	v_lshlrev_b64 v[10:11], 3, v[3:4]
	v_mad_u64_u32 v[3:4], null, s21, v16, v[5:6]
	s_lshl_b64 s[20:21], s[22:23], 7
	s_add_u32 s22, s30, -8
	s_delay_alu instid0(SALU_CYCLE_1) | instskip(SKIP_1) | instid1(VALU_DEP_3)
	v_mad_u64_u32 v[4:5], null, v16, s22, v[12:13]
	v_mad_u64_u32 v[12:13], null, s23, v16, v[1:2]
	v_mov_b32_e32 v7, v3
	s_addc_u32 s22, s31, -1
	v_add_co_u32 v1, vcc_lo, s26, v10
	s_delay_alu instid0(VALU_DEP_4) | instskip(NEXT) | instid1(VALU_DEP_3)
	v_mov_b32_e32 v3, v5
	v_lshlrev_b64 v[5:6], 3, v[6:7]
	v_mov_b32_e32 v9, v12
	v_sub_nc_u32_e32 v7, s34, v14
	v_add_co_ci_u32_e32 v18, vcc_lo, s27, v11, vcc_lo
	v_mov_b32_e32 v12, 0
	s_delay_alu instid0(VALU_DEP_4)
	v_lshlrev_b64 v[9:10], 3, v[8:9]
	v_mov_b32_e32 v8, 0
	v_mad_u64_u32 v[13:14], null, v16, s22, v[3:4]
	v_add_co_u32 v5, vcc_lo, s2, v5
	v_add_co_ci_u32_e32 v6, vcc_lo, s3, v6, vcc_lo
	v_subrev_nc_u32_e32 v19, s33, v7
	s_delay_alu instid0(VALU_DEP_4)
	v_dual_mov_b32 v7, 0 :: v_dual_mov_b32 v20, v13
	s_add_u32 s3, s20, 0xffffff80
	s_addc_u32 s30, s21, -1
	s_mov_b64 s[22:23], 0
	s_branch .LBB4_16
.LBB4_13:                               ;   in Loop: Header=BB4_16 Depth=1
	s_or_b32 exec_lo, exec_lo, s2
.LBB4_14:                               ;   in Loop: Header=BB4_16 Depth=1
	s_delay_alu instid0(SALU_CYCLE_1)
	s_or_b32 exec_lo, exec_lo, s33
.LBB4_15:                               ;   in Loop: Header=BB4_16 Depth=1
	s_delay_alu instid0(SALU_CYCLE_1)
	s_or_b32 exec_lo, exec_lo, s31
	v_add_co_u32 v5, vcc_lo, v5, s18
	v_add_nc_u32_e32 v16, 16, v16
	v_add_co_ci_u32_e32 v6, vcc_lo, s19, v6, vcc_lo
	v_add_co_u32 v9, vcc_lo, v9, s20
	v_add_co_ci_u32_e32 v10, vcc_lo, s21, v10, vcc_lo
	s_delay_alu instid0(VALU_DEP_4)
	v_cmp_le_i32_e32 vcc_lo, s5, v16
	v_add_co_u32 v4, s2, v4, s3
	v_add_nc_u32_e32 v2, -16, v2
	v_add_co_ci_u32_e64 v20, s2, s30, v20, s2
	s_add_u32 s22, s22, -16
	s_addc_u32 s23, s23, -1
	s_or_b32 s28, vcc_lo, s28
	s_delay_alu instid0(SALU_CYCLE_1)
	s_and_not1_b32 exec_lo, exec_lo, s28
	s_cbranch_execz .LBB4_41
.LBB4_16:                               ; =>This Inner Loop Header: Depth=1
	s_and_saveexec_b32 s31, s1
	s_cbranch_execz .LBB4_15
; %bb.17:                               ;   in Loop: Header=BB4_16 Depth=1
	v_cmp_lt_i32_e32 vcc_lo, v16, v0
	v_cmp_gt_i32_e64 s2, v16, v0
	s_or_b32 s33, vcc_lo, s4
	s_delay_alu instid0(VALU_DEP_1) | instskip(NEXT) | instid1(SALU_CYCLE_1)
	s_or_b32 s2, s2, s0
	s_and_b32 s2, s33, s2
	s_delay_alu instid0(SALU_CYCLE_1) | instskip(NEXT) | instid1(SALU_CYCLE_1)
	s_xor_b32 s2, s2, -1
	s_and_saveexec_b32 s33, s2
	s_delay_alu instid0(SALU_CYCLE_1)
	s_xor_b32 s33, exec_lo, s33
	s_cbranch_execz .LBB4_38
; %bb.18:                               ;   in Loop: Header=BB4_16 Depth=1
	v_add_nc_u32_e32 v11, s22, v17
	s_delay_alu instid0(VALU_DEP_1) | instskip(SKIP_1) | instid1(VALU_DEP_1)
	v_cmp_le_i32_e32 vcc_lo, s6, v11
	v_cmp_gt_i32_e64 s2, 1, v11
	s_or_b32 s2, vcc_lo, s2
	s_delay_alu instid0(SALU_CYCLE_1) | instskip(NEXT) | instid1(SALU_CYCLE_1)
	s_and_saveexec_b32 s34, s2
	s_xor_b32 s2, exec_lo, s34
	s_cbranch_execz .LBB4_35
; %bb.19:                               ;   in Loop: Header=BB4_16 Depth=1
	s_mov_b32 s34, exec_lo
	v_cmpx_ne_u32_e32 0, v11
	s_xor_b32 s34, exec_lo, s34
	s_cbranch_execz .LBB4_28
; %bb.20:                               ;   in Loop: Header=BB4_16 Depth=1
	s_mov_b32 s35, exec_lo
	v_cmpx_eq_u32_e64 s6, v11
	s_cbranch_execz .LBB4_27
; %bb.21:                               ;   in Loop: Header=BB4_16 Depth=1
	s_and_b32 vcc_lo, exec_lo, s4
	s_cbranch_vccz .LBB4_23
; %bb.22:                               ;   in Loop: Header=BB4_16 Depth=1
	v_add_co_u32 v13, vcc_lo, s26, v4
	v_add_co_ci_u32_e32 v14, vcc_lo, s27, v20, vcc_lo
	s_mov_b32 s36, 0
	flat_load_b64 v[21:22], v[5:6]
	flat_load_b64 v[13:14], v[13:14]
	s_waitcnt vmcnt(0) lgkmcnt(0)
	v_mul_f32_e32 v3, v22, v14
	s_delay_alu instid0(VALU_DEP_1) | instskip(NEXT) | instid1(VALU_DEP_1)
	v_fma_f32 v3, v21, v13, -v3
	v_dual_mul_f32 v14, v21, v14 :: v_dual_add_f32 v11, v7, v3
	s_delay_alu instid0(VALU_DEP_1) | instskip(NEXT) | instid1(VALU_DEP_1)
	v_fmac_f32_e32 v14, v22, v13
	v_add_f32_e32 v3, v8, v14
	s_branch .LBB4_24
.LBB4_23:                               ;   in Loop: Header=BB4_16 Depth=1
	s_mov_b32 s36, -1
                                        ; implicit-def: $vgpr3
                                        ; implicit-def: $vgpr11
.LBB4_24:                               ;   in Loop: Header=BB4_16 Depth=1
	s_delay_alu instid0(SALU_CYCLE_1)
	s_and_not1_b32 vcc_lo, exec_lo, s36
	s_cbranch_vccnz .LBB4_26
; %bb.25:                               ;   in Loop: Header=BB4_16 Depth=1
	v_ashrrev_i32_e32 v3, 31, v2
	s_delay_alu instid0(VALU_DEP_1) | instskip(NEXT) | instid1(VALU_DEP_1)
	v_lshlrev_b64 v[13:14], 3, v[2:3]
	v_add_co_u32 v3, vcc_lo, v9, v13
	s_delay_alu instid0(VALU_DEP_2) | instskip(NEXT) | instid1(VALU_DEP_2)
	v_add_co_ci_u32_e32 v11, vcc_lo, v10, v14, vcc_lo
	v_add_co_u32 v13, vcc_lo, s26, v3
	s_delay_alu instid0(VALU_DEP_2)
	v_add_co_ci_u32_e32 v14, vcc_lo, s27, v11, vcc_lo
	flat_load_b64 v[21:22], v[5:6]
	flat_load_b32 v3, v[13:14]
	s_waitcnt vmcnt(0) lgkmcnt(0)
	v_fmac_f32_e32 v8, v3, v22
	v_fmac_f32_e32 v7, v3, v21
	s_delay_alu instid0(VALU_DEP_2) | instskip(NEXT) | instid1(VALU_DEP_2)
	v_mov_b32_e32 v3, v8
	v_mov_b32_e32 v11, v7
.LBB4_26:                               ;   in Loop: Header=BB4_16 Depth=1
	s_delay_alu instid0(VALU_DEP_1) | instskip(NEXT) | instid1(VALU_DEP_2)
	v_mov_b32_e32 v8, v3
	v_mov_b32_e32 v7, v11
.LBB4_27:                               ;   in Loop: Header=BB4_16 Depth=1
	s_or_b32 exec_lo, exec_lo, s35
.LBB4_28:                               ;   in Loop: Header=BB4_16 Depth=1
	s_and_not1_saveexec_b32 s34, s34
	s_cbranch_execz .LBB4_34
; %bb.29:                               ;   in Loop: Header=BB4_16 Depth=1
	v_add_co_u32 v13, vcc_lo, s26, v9
	v_add_co_ci_u32_e32 v14, vcc_lo, s27, v10, vcc_lo
	s_and_not1_b32 vcc_lo, exec_lo, s29
	s_cbranch_vccnz .LBB4_31
; %bb.30:                               ;   in Loop: Header=BB4_16 Depth=1
	flat_load_b32 v11, v[13:14]
	flat_load_b64 v[21:22], v[5:6]
	s_waitcnt vmcnt(0) lgkmcnt(0)
	v_fma_f32 v3, v11, v21, v7
	v_fma_f32 v11, v11, v22, v8
	s_cbranch_execz .LBB4_32
	s_branch .LBB4_33
.LBB4_31:                               ;   in Loop: Header=BB4_16 Depth=1
                                        ; implicit-def: $vgpr11
                                        ; implicit-def: $vgpr3
.LBB4_32:                               ;   in Loop: Header=BB4_16 Depth=1
	flat_load_b64 v[13:14], v[13:14]
	flat_load_b64 v[21:22], v[5:6]
	s_waitcnt vmcnt(0) lgkmcnt(0)
	v_mul_f32_e32 v3, v22, v14
	v_mul_f32_e32 v11, v21, v14
	s_delay_alu instid0(VALU_DEP_2) | instskip(NEXT) | instid1(VALU_DEP_2)
	v_fma_f32 v3, v21, v13, -v3
	v_fmac_f32_e32 v11, v22, v13
	s_delay_alu instid0(VALU_DEP_2) | instskip(NEXT) | instid1(VALU_DEP_2)
	v_add_f32_e32 v3, v7, v3
	v_add_f32_e32 v11, v8, v11
.LBB4_33:                               ;   in Loop: Header=BB4_16 Depth=1
	s_delay_alu instid0(VALU_DEP_1) | instskip(NEXT) | instid1(VALU_DEP_3)
	v_mov_b32_e32 v8, v11
	v_mov_b32_e32 v7, v3
.LBB4_34:                               ;   in Loop: Header=BB4_16 Depth=1
	s_or_b32 exec_lo, exec_lo, s34
.LBB4_35:                               ;   in Loop: Header=BB4_16 Depth=1
	s_and_not1_saveexec_b32 s2, s2
	s_cbranch_execz .LBB4_37
; %bb.36:                               ;   in Loop: Header=BB4_16 Depth=1
	v_lshlrev_b64 v[13:14], 3, v[11:12]
	s_delay_alu instid0(VALU_DEP_1) | instskip(NEXT) | instid1(VALU_DEP_2)
	v_add_co_u32 v3, vcc_lo, v9, v13
	v_add_co_ci_u32_e32 v11, vcc_lo, v10, v14, vcc_lo
	s_delay_alu instid0(VALU_DEP_2) | instskip(NEXT) | instid1(VALU_DEP_2)
	v_add_co_u32 v13, vcc_lo, s26, v3
	v_add_co_ci_u32_e32 v14, vcc_lo, s27, v11, vcc_lo
	flat_load_b64 v[21:22], v[5:6]
	flat_load_b64 v[13:14], v[13:14]
	s_waitcnt vmcnt(0) lgkmcnt(0)
	v_mul_f32_e32 v11, v21, v14
	s_delay_alu instid0(VALU_DEP_1) | instskip(NEXT) | instid1(VALU_DEP_1)
	v_fmac_f32_e32 v11, v22, v13
	v_dual_mul_f32 v3, v22, v14 :: v_dual_add_f32 v8, v8, v11
	s_delay_alu instid0(VALU_DEP_1) | instskip(NEXT) | instid1(VALU_DEP_1)
	v_fma_f32 v3, v21, v13, -v3
	v_add_f32_e32 v7, v7, v3
.LBB4_37:                               ;   in Loop: Header=BB4_16 Depth=1
	s_or_b32 exec_lo, exec_lo, s2
.LBB4_38:                               ;   in Loop: Header=BB4_16 Depth=1
	s_and_not1_saveexec_b32 s33, s33
	s_cbranch_execz .LBB4_14
; %bb.39:                               ;   in Loop: Header=BB4_16 Depth=1
	v_add_nc_u32_e32 v11, v19, v16
	s_delay_alu instid0(VALU_DEP_1) | instskip(SKIP_1) | instid1(VALU_DEP_1)
	v_cmp_ge_i32_e32 vcc_lo, s6, v11
	v_cmp_lt_i32_e64 s2, -1, v11
	s_and_b32 s34, vcc_lo, s2
	s_delay_alu instid0(SALU_CYCLE_1)
	s_and_saveexec_b32 s2, s34
	s_cbranch_execz .LBB4_13
; %bb.40:                               ;   in Loop: Header=BB4_16 Depth=1
	v_lshlrev_b64 v[13:14], 3, v[11:12]
	s_delay_alu instid0(VALU_DEP_1) | instskip(NEXT) | instid1(VALU_DEP_2)
	v_add_co_u32 v13, vcc_lo, v1, v13
	v_add_co_ci_u32_e32 v14, vcc_lo, v18, v14, vcc_lo
	flat_load_b64 v[21:22], v[5:6]
	flat_load_b64 v[13:14], v[13:14]
	s_waitcnt vmcnt(0) lgkmcnt(0)
	v_mul_f32_e32 v11, v14, v21
	s_delay_alu instid0(VALU_DEP_1) | instskip(NEXT) | instid1(VALU_DEP_1)
	v_fma_f32 v11, v13, v22, -v11
	v_dual_mul_f32 v3, v14, v22 :: v_dual_add_f32 v8, v8, v11
	s_delay_alu instid0(VALU_DEP_1) | instskip(NEXT) | instid1(VALU_DEP_1)
	v_fmac_f32_e32 v3, v13, v21
	v_add_f32_e32 v7, v7, v3
	s_branch .LBB4_13
.LBB4_41:
	s_or_b32 exec_lo, exec_lo, s28
.LBB4_42:
	s_delay_alu instid0(SALU_CYCLE_1)
	s_or_b32 exec_lo, exec_lo, s7
	v_lshlrev_b32_e32 v0, 3, v15
	ds_store_b64 v0, v[7:8]
	s_waitcnt lgkmcnt(0)
	s_barrier
	buffer_gl0_inv
.LBB4_43:
	s_mov_b32 s0, exec_lo
	s_delay_alu instid0(VALU_DEP_1)
	v_cmpx_gt_u32_e32 64, v15
	s_cbranch_execz .LBB4_55
; %bb.44:
	v_lshl_or_b32 v4, s14, 6, v15
	s_lshl_b64 s[2:3], s[8:9], 3
	s_waitcnt lgkmcnt(0)
	s_add_u32 s1, s16, s2
	s_addc_u32 s2, s17, s3
	v_cmp_gt_i32_e64 s0, s5, v4
	s_and_b32 vcc_lo, exec_lo, s15
	s_mov_b32 s3, -1
	s_cbranch_vccz .LBB4_50
; %bb.45:
	s_delay_alu instid0(VALU_DEP_1)
	s_and_saveexec_b32 s3, s0
	s_cbranch_execz .LBB4_49
; %bb.46:
	v_ashrrev_i32_e32 v0, 31, v4
	v_mul_lo_u32 v2, v4, s11
	v_cmp_neq_f32_e64 s0, s12, 0
	v_cmp_neq_f32_e64 s4, s13, 0
	s_delay_alu instid0(VALU_DEP_4) | instskip(SKIP_1) | instid1(VALU_DEP_3)
	v_mul_lo_u32 v3, v0, s10
	v_mad_u64_u32 v[0:1], null, v4, s10, 0
	s_or_b32 s0, s0, s4
	s_delay_alu instid0(SALU_CYCLE_1) | instskip(NEXT) | instid1(VALU_DEP_1)
	s_and_not1_b32 vcc_lo, exec_lo, s0
	v_add3_u32 v1, v1, v2, v3
	v_dual_mov_b32 v3, 0 :: v_dual_mov_b32 v2, 0
	s_delay_alu instid0(VALU_DEP_2)
	v_lshlrev_b64 v[0:1], 3, v[0:1]
	s_cbranch_vccnz .LBB4_48
; %bb.47:
	s_delay_alu instid0(VALU_DEP_1) | instskip(NEXT) | instid1(VALU_DEP_2)
	v_add_co_u32 v2, vcc_lo, s1, v0
	v_add_co_ci_u32_e32 v3, vcc_lo, s2, v1, vcc_lo
	global_load_b64 v[5:6], v[2:3], off
	s_waitcnt vmcnt(0)
	v_mul_f32_e32 v3, s12, v6
	s_delay_alu instid0(VALU_DEP_1) | instskip(NEXT) | instid1(VALU_DEP_1)
	v_dual_mul_f32 v2, s13, v6 :: v_dual_fmac_f32 v3, s13, v5
	v_fma_f32 v2, s12, v5, -v2
.LBB4_48:
	s_delay_alu instid0(VALU_DEP_1) | instskip(NEXT) | instid1(VALU_DEP_2)
	v_add_co_u32 v0, vcc_lo, s1, v0
	v_add_co_ci_u32_e32 v1, vcc_lo, s2, v1, vcc_lo
	global_store_b64 v[0:1], v[2:3], off
.LBB4_49:
	s_or_b32 exec_lo, exec_lo, s3
	s_mov_b32 s3, 0
.LBB4_50:
	s_delay_alu instid0(SALU_CYCLE_1)
	s_and_not1_b32 vcc_lo, exec_lo, s3
	s_cbranch_vccnz .LBB4_55
; %bb.51:
	v_lshlrev_b32_e32 v13, 3, v15
	v_cmp_gt_i32_e32 vcc_lo, s5, v4
	ds_load_2addr_stride64_b64 v[0:3], v13 offset1:1
	ds_load_2addr_stride64_b64 v[5:8], v13 offset0:2 offset1:3
	ds_load_2addr_stride64_b64 v[9:12], v13 offset0:4 offset1:5
	s_waitcnt lgkmcnt(2)
	v_add_f32_e32 v0, v0, v2
	s_waitcnt lgkmcnt(1)
	s_delay_alu instid0(VALU_DEP_1) | instskip(SKIP_3) | instid1(VALU_DEP_1)
	v_dual_add_f32 v14, v1, v3 :: v_dual_add_f32 v5, v0, v5
	ds_load_2addr_stride64_b64 v[0:3], v13 offset0:6 offset1:7
	v_dual_add_f32 v6, v14, v6 :: v_dual_add_f32 v5, v5, v7
	s_waitcnt lgkmcnt(1)
	v_dual_add_f32 v14, v6, v8 :: v_dual_add_f32 v9, v5, v9
	ds_load_2addr_stride64_b64 v[5:8], v13 offset0:8 offset1:9
	v_dual_add_f32 v10, v14, v10 :: v_dual_add_f32 v9, v9, v11
	s_waitcnt lgkmcnt(1)
	s_delay_alu instid0(VALU_DEP_1) | instskip(NEXT) | instid1(VALU_DEP_1)
	v_add_f32_e32 v0, v9, v0
	v_add_f32_e32 v0, v0, v2
	s_delay_alu instid0(VALU_DEP_3) | instskip(SKIP_4) | instid1(VALU_DEP_1)
	v_add_f32_e32 v14, v10, v12
	ds_load_2addr_stride64_b64 v[9:12], v13 offset0:10 offset1:11
	s_waitcnt lgkmcnt(1)
	v_add_f32_e32 v5, v0, v5
	v_add_f32_e32 v1, v14, v1
	;; [unrolled: 1-line block ×3, first 2 shown]
	ds_load_2addr_stride64_b64 v[0:3], v13 offset0:12 offset1:13
	v_add_f32_e32 v6, v14, v6
	v_add_f32_e32 v14, v5, v7
	s_waitcnt lgkmcnt(1)
	s_delay_alu instid0(VALU_DEP_1) | instskip(NEXT) | instid1(VALU_DEP_1)
	v_add_f32_e32 v9, v14, v9
	v_add_f32_e32 v9, v9, v11
	;; [unrolled: 1-line block ×3, first 2 shown]
	ds_load_2addr_stride64_b64 v[5:8], v13 offset0:14 offset1:15
	s_waitcnt lgkmcnt(1)
	v_add_f32_e32 v0, v9, v0
	v_add_f32_e32 v10, v15, v10
	s_delay_alu instid0(VALU_DEP_1) | instskip(NEXT) | instid1(VALU_DEP_1)
	v_add_f32_e32 v10, v10, v12
	v_add_f32_e32 v1, v10, v1
	s_delay_alu instid0(VALU_DEP_1) | instskip(SKIP_1) | instid1(VALU_DEP_1)
	v_add_f32_e32 v1, v1, v3
	s_waitcnt lgkmcnt(0)
	v_add_f32_e32 v1, v1, v6
	s_delay_alu instid0(VALU_DEP_1) | instskip(NEXT) | instid1(VALU_DEP_1)
	v_dual_add_f32 v0, v0, v2 :: v_dual_add_f32 v1, v1, v8
	v_add_f32_e32 v0, v0, v5
	s_delay_alu instid0(VALU_DEP_1)
	v_add_f32_e32 v0, v0, v7
	ds_store_b64 v13, v[0:1]
	s_and_b32 exec_lo, exec_lo, vcc_lo
	s_cbranch_execz .LBB4_55
; %bb.52:
	v_ashrrev_i32_e32 v2, 31, v4
	v_mul_lo_u32 v3, v4, s11
	v_mad_u64_u32 v[5:6], null, v4, s10, 0
	v_mul_f32_e32 v4, s25, v1
	s_delay_alu instid0(VALU_DEP_4) | instskip(SKIP_2) | instid1(VALU_DEP_1)
	v_mul_lo_u32 v2, v2, s10
	v_cmp_neq_f32_e64 s0, s12, 0
	v_cmp_neq_f32_e64 s3, s13, 0
	s_or_b32 s0, s0, s3
	s_delay_alu instid0(VALU_DEP_3) | instskip(SKIP_3) | instid1(VALU_DEP_3)
	v_add3_u32 v6, v6, v3, v2
	v_mul_f32_e32 v2, s24, v1
	v_fma_f32 v1, v0, s24, -v4
	s_and_not1_b32 vcc_lo, exec_lo, s0
	v_lshlrev_b64 v[3:4], 3, v[5:6]
	s_delay_alu instid0(VALU_DEP_3)
	v_fmac_f32_e32 v2, s25, v0
	s_cbranch_vccnz .LBB4_54
; %bb.53:
	s_delay_alu instid0(VALU_DEP_2) | instskip(NEXT) | instid1(VALU_DEP_3)
	v_add_co_u32 v5, vcc_lo, s1, v3
	v_add_co_ci_u32_e32 v6, vcc_lo, s2, v4, vcc_lo
	global_load_b64 v[5:6], v[5:6], off
	s_waitcnt vmcnt(0)
	v_mul_f32_e32 v0, s13, v6
	s_delay_alu instid0(VALU_DEP_1) | instskip(NEXT) | instid1(VALU_DEP_1)
	v_fma_f32 v0, s12, v5, -v0
	v_dual_mul_f32 v6, s12, v6 :: v_dual_add_f32 v1, v1, v0
	s_delay_alu instid0(VALU_DEP_1) | instskip(NEXT) | instid1(VALU_DEP_1)
	v_fmac_f32_e32 v6, s13, v5
	v_add_f32_e32 v2, v2, v6
.LBB4_54:
	s_delay_alu instid0(VALU_DEP_2) | instskip(NEXT) | instid1(VALU_DEP_3)
	v_add_co_u32 v3, vcc_lo, s1, v3
	v_add_co_ci_u32_e32 v4, vcc_lo, s2, v4, vcc_lo
	global_store_b64 v[3:4], v[1:2], off
.LBB4_55:
	s_nop 0
	s_sendmsg sendmsg(MSG_DEALLOC_VGPRS)
	s_endpgm
	.section	.rodata,"a",@progbits
	.p2align	6, 0x0
	.amdhsa_kernel _ZL20rocblas_hbmvn_kernelILi64ELi16EPK19rocblas_complex_numIfEPKS3_PKPS1_EvbiiT1_T2_lllSA_lllS9_T3_llli
		.amdhsa_group_segment_fixed_size 8192
		.amdhsa_private_segment_fixed_size 0
		.amdhsa_kernarg_size 392
		.amdhsa_user_sgpr_count 14
		.amdhsa_user_sgpr_dispatch_ptr 0
		.amdhsa_user_sgpr_queue_ptr 0
		.amdhsa_user_sgpr_kernarg_segment_ptr 1
		.amdhsa_user_sgpr_dispatch_id 0
		.amdhsa_user_sgpr_private_segment_size 0
		.amdhsa_wavefront_size32 1
		.amdhsa_uses_dynamic_stack 0
		.amdhsa_enable_private_segment 0
		.amdhsa_system_sgpr_workgroup_id_x 1
		.amdhsa_system_sgpr_workgroup_id_y 0
		.amdhsa_system_sgpr_workgroup_id_z 1
		.amdhsa_system_sgpr_workgroup_info 0
		.amdhsa_system_vgpr_workitem_id 1
		.amdhsa_next_free_vgpr 23
		.amdhsa_next_free_sgpr 37
		.amdhsa_reserve_vcc 1
		.amdhsa_float_round_mode_32 0
		.amdhsa_float_round_mode_16_64 0
		.amdhsa_float_denorm_mode_32 3
		.amdhsa_float_denorm_mode_16_64 3
		.amdhsa_dx10_clamp 1
		.amdhsa_ieee_mode 1
		.amdhsa_fp16_overflow 0
		.amdhsa_workgroup_processor_mode 1
		.amdhsa_memory_ordered 1
		.amdhsa_forward_progress 0
		.amdhsa_shared_vgpr_count 0
		.amdhsa_exception_fp_ieee_invalid_op 0
		.amdhsa_exception_fp_denorm_src 0
		.amdhsa_exception_fp_ieee_div_zero 0
		.amdhsa_exception_fp_ieee_overflow 0
		.amdhsa_exception_fp_ieee_underflow 0
		.amdhsa_exception_fp_ieee_inexact 0
		.amdhsa_exception_int_div_zero 0
	.end_amdhsa_kernel
	.section	.text._ZL20rocblas_hbmvn_kernelILi64ELi16EPK19rocblas_complex_numIfEPKS3_PKPS1_EvbiiT1_T2_lllSA_lllS9_T3_llli,"axG",@progbits,_ZL20rocblas_hbmvn_kernelILi64ELi16EPK19rocblas_complex_numIfEPKS3_PKPS1_EvbiiT1_T2_lllSA_lllS9_T3_llli,comdat
.Lfunc_end4:
	.size	_ZL20rocblas_hbmvn_kernelILi64ELi16EPK19rocblas_complex_numIfEPKS3_PKPS1_EvbiiT1_T2_lllSA_lllS9_T3_llli, .Lfunc_end4-_ZL20rocblas_hbmvn_kernelILi64ELi16EPK19rocblas_complex_numIfEPKS3_PKPS1_EvbiiT1_T2_lllSA_lllS9_T3_llli
                                        ; -- End function
	.section	.AMDGPU.csdata,"",@progbits
; Kernel info:
; codeLenInByte = 2388
; NumSgprs: 39
; NumVgprs: 23
; ScratchSize: 0
; MemoryBound: 0
; FloatMode: 240
; IeeeMode: 1
; LDSByteSize: 8192 bytes/workgroup (compile time only)
; SGPRBlocks: 4
; VGPRBlocks: 2
; NumSGPRsForWavesPerEU: 39
; NumVGPRsForWavesPerEU: 23
; Occupancy: 16
; WaveLimiterHint : 1
; COMPUTE_PGM_RSRC2:SCRATCH_EN: 0
; COMPUTE_PGM_RSRC2:USER_SGPR: 14
; COMPUTE_PGM_RSRC2:TRAP_HANDLER: 0
; COMPUTE_PGM_RSRC2:TGID_X_EN: 1
; COMPUTE_PGM_RSRC2:TGID_Y_EN: 0
; COMPUTE_PGM_RSRC2:TGID_Z_EN: 1
; COMPUTE_PGM_RSRC2:TIDIG_COMP_CNT: 1
	.section	.text._ZL20rocblas_hbmvn_kernelILi64ELi16E19rocblas_complex_numIfEPKPKS1_PKPS1_EvbiiT1_T2_lllSA_lllS9_T3_llli,"axG",@progbits,_ZL20rocblas_hbmvn_kernelILi64ELi16E19rocblas_complex_numIfEPKPKS1_PKPS1_EvbiiT1_T2_lllSA_lllS9_T3_llli,comdat
	.globl	_ZL20rocblas_hbmvn_kernelILi64ELi16E19rocblas_complex_numIfEPKPKS1_PKPS1_EvbiiT1_T2_lllSA_lllS9_T3_llli ; -- Begin function _ZL20rocblas_hbmvn_kernelILi64ELi16E19rocblas_complex_numIfEPKPKS1_PKPS1_EvbiiT1_T2_lllSA_lllS9_T3_llli
	.p2align	8
	.type	_ZL20rocblas_hbmvn_kernelILi64ELi16E19rocblas_complex_numIfEPKPKS1_PKPS1_EvbiiT1_T2_lllSA_lllS9_T3_llli,@function
_ZL20rocblas_hbmvn_kernelILi64ELi16E19rocblas_complex_numIfEPKPKS1_PKPS1_EvbiiT1_T2_lllSA_lllS9_T3_llli: ; @_ZL20rocblas_hbmvn_kernelILi64ELi16E19rocblas_complex_numIfEPKPKS1_PKPS1_EvbiiT1_T2_lllSA_lllS9_T3_llli
; %bb.0:
	s_load_b64 s[4:5], s[0:1], 0x94
	s_waitcnt lgkmcnt(0)
	s_lshr_b32 s3, s4, 16
	s_and_b32 s20, s4, 0xffff
	s_and_b32 s4, s5, 0xffff
	s_mul_i32 s3, s3, s20
	s_delay_alu instid0(SALU_CYCLE_1) | instskip(NEXT) | instid1(SALU_CYCLE_1)
	s_mul_i32 s3, s3, s4
	s_cmpk_lg_i32 s3, 0x400
	s_cbranch_scc1 .LBB5_55
; %bb.1:
	s_mov_b32 s2, s15
	s_clause 0x2
	s_load_b128 s[4:7], s[0:1], 0x0
	s_load_b32 s15, s[0:1], 0x10
	s_load_b64 s[12:13], s[0:1], 0x58
	s_waitcnt lgkmcnt(0)
	v_cmp_neq_f32_e64 s3, s7, 0
	v_cmp_neq_f32_e64 s8, s15, 0
	s_delay_alu instid0(VALU_DEP_1) | instskip(NEXT) | instid1(SALU_CYCLE_1)
	s_or_b32 s3, s3, s8
	s_and_b32 vcc_lo, exec_lo, s3
	s_mov_b32 s3, -1
	s_cbranch_vccnz .LBB5_3
; %bb.2:
	v_cmp_neq_f32_e64 s3, s12, 1.0
	v_cmp_neq_f32_e64 s8, s13, 0
	s_delay_alu instid0(VALU_DEP_1)
	s_or_b32 s3, s3, s8
.LBB5_3:
	s_delay_alu instid0(SALU_CYCLE_1)
	s_and_not1_b32 vcc_lo, exec_lo, s3
	s_cbranch_vccnz .LBB5_55
; %bb.4:
	s_clause 0x1
	s_load_b128 s[8:11], s[0:1], 0x18
	s_load_b64 s[22:23], s[0:1], 0x28
	s_or_b32 s3, s7, s15
	s_delay_alu instid0(SALU_CYCLE_1) | instskip(NEXT) | instid1(SALU_CYCLE_1)
	s_bitset0_b32 s3, 31
	s_cmp_lg_u32 s3, 0
	s_cselect_b32 s21, -1, 0
	s_cmp_eq_u32 s3, 0
	s_mov_b32 s3, 0
	s_cselect_b32 s26, -1, 0
	s_and_b32 vcc_lo, exec_lo, s21
	s_cbranch_vccnz .LBB5_6
; %bb.5:
	s_mov_b64 s[16:17], 0
	s_and_not1_b32 vcc_lo, exec_lo, s3
	s_cbranch_vccz .LBB5_7
	s_branch .LBB5_8
.LBB5_6:
	s_mov_b32 s3, -1
                                        ; implicit-def: $sgpr16_sgpr17
.LBB5_7:
	s_mov_b32 s3, 0
	s_delay_alu instid0(SALU_CYCLE_1)
	s_lshl_b64 s[16:17], s[2:3], 3
	s_waitcnt lgkmcnt(0)
	s_add_u32 s8, s8, s16
	s_addc_u32 s9, s9, s17
	s_lshl_b64 s[10:11], s[10:11], 3
	s_load_b64 s[8:9], s[8:9], 0x0
	s_waitcnt lgkmcnt(0)
	s_add_u32 s16, s8, s10
	s_addc_u32 s17, s9, s11
.LBB5_8:
	s_waitcnt lgkmcnt(0)
	s_clause 0x1
	s_load_b128 s[8:11], s[0:1], 0x38
	s_load_b64 s[18:19], s[0:1], 0x48
	v_cndmask_b32_e64 v1, 0, 1, s21
	s_and_not1_b32 vcc_lo, exec_lo, s21
	s_mov_b64 s[24:25], 0
	s_cbranch_vccnz .LBB5_10
; %bb.9:
	s_lshl_b64 s[24:25], s[2:3], 3
	s_waitcnt lgkmcnt(0)
	s_add_u32 s8, s8, s24
	s_addc_u32 s9, s9, s25
	s_lshl_b64 s[10:11], s[10:11], 3
	s_load_b64 s[8:9], s[8:9], 0x0
	s_waitcnt lgkmcnt(0)
	s_add_u32 s24, s8, s10
	s_addc_u32 s25, s9, s11
.LBB5_10:
	s_waitcnt lgkmcnt(0)
	s_load_b128 s[8:11], s[0:1], 0x60
	s_lshl_b64 s[2:3], s[2:3], 3
	v_and_b32_e32 v2, 0x3ff, v0
	v_bfe_u32 v0, v0, 10, 10
	v_cmp_ne_u32_e32 vcc_lo, 1, v1
	s_delay_alu instid0(VALU_DEP_2)
	v_mad_u32_u24 v15, v0, s20, v2
	s_waitcnt lgkmcnt(0)
	s_add_u32 s2, s8, s2
	s_addc_u32 s3, s9, s3
	s_load_b64 s[8:9], s[2:3], 0x0
	s_cbranch_vccnz .LBB5_43
; %bb.11:
	v_lshrrev_b32_e32 v16, 6, v15
	v_dual_mov_b32 v8, 0 :: v_dual_mov_b32 v7, 0
	s_mov_b32 s28, 0
	s_mov_b32 s27, exec_lo
	s_delay_alu instid0(VALU_DEP_2)
	v_cmpx_gt_i32_e64 s5, v16
	s_cbranch_execz .LBB5_42
; %bb.12:
	v_mad_u64_u32 v[6:7], null, s18, v16, 0
	v_and_b32_e32 v14, 63, v15
	s_lshl_b32 s31, s14, 6
	s_bitcmp1_b32 s4, 0
	v_mad_u64_u32 v[8:9], null, s22, v16, 0
	s_delay_alu instid0(VALU_DEP_2) | instskip(SKIP_1) | instid1(SALU_CYCLE_1)
	v_or_b32_e32 v0, s31, v14
	s_cselect_b32 s2, -1, 0
	s_and_b32 s3, s2, exec_lo
	s_cselect_b32 s4, s6, 0
	s_delay_alu instid0(VALU_DEP_1) | instskip(SKIP_3) | instid1(VALU_DEP_4)
	v_ashrrev_i32_e32 v1, 31, v0
	v_mul_lo_u32 v5, v0, s23
	v_mad_u64_u32 v[3:4], null, v0, s22, 0
	v_sub_nc_u32_e32 v10, v0, v16
	v_mul_lo_u32 v11, v1, s22
	s_xor_b32 s29, s2, -1
	s_cmp_eq_u32 s6, 0
	v_lshlrev_b64 v[12:13], 3, v[0:1]
	s_cselect_b32 s20, -1, 0
	v_mov_b32_e32 v1, v9
	s_lshl_b64 s[34:35], s[22:23], 3
	s_or_b32 s30, s20, s29
	v_add3_u32 v4, v4, v5, v11
	v_mov_b32_e32 v5, v7
	v_add3_u32 v2, s6, s31, v14
	s_lshl_b64 s[20:21], s[22:23], 7
	v_cmp_gt_i32_e64 s3, s5, v0
	s_delay_alu instid0(VALU_DEP_2) | instskip(NEXT) | instid1(VALU_DEP_1)
	v_sub_nc_u32_e32 v2, v2, v16
	v_cndmask_b32_e64 v17, v10, v2, s2
	v_lshlrev_b64 v[10:11], 3, v[3:4]
	v_mad_u64_u32 v[3:4], null, s19, v16, v[5:6]
	s_lshl_b64 s[18:19], s[18:19], 7
	s_add_u32 s22, s34, -8
	s_delay_alu instid0(SALU_CYCLE_1) | instskip(SKIP_1) | instid1(VALU_DEP_3)
	v_mad_u64_u32 v[4:5], null, v16, s22, v[12:13]
	v_mad_u64_u32 v[12:13], null, s23, v16, v[1:2]
	v_mov_b32_e32 v7, v3
	v_add_co_u32 v1, vcc_lo, s16, v10
	v_add_co_ci_u32_e32 v18, vcc_lo, s17, v11, vcc_lo
	v_mov_b32_e32 v3, v5
	v_mov_b32_e32 v9, v12
	v_lshlrev_b64 v[5:6], 3, v[6:7]
	v_sub_nc_u32_e32 v7, s4, v14
	s_addc_u32 s4, s35, -1
	v_mov_b32_e32 v12, 0
	v_lshlrev_b64 v[9:10], 3, v[8:9]
	v_mov_b32_e32 v8, 0
	v_mad_u64_u32 v[13:14], null, v16, s4, v[3:4]
	v_add_co_u32 v5, vcc_lo, s24, v5
	v_add_co_ci_u32_e32 v6, vcc_lo, s25, v6, vcc_lo
	v_subrev_nc_u32_e32 v19, s31, v7
	s_delay_alu instid0(VALU_DEP_4)
	v_dual_mov_b32 v7, 0 :: v_dual_mov_b32 v20, v13
	s_add_u32 s24, s20, 0xffffff80
	s_addc_u32 s25, s21, -1
	s_mov_b64 s[22:23], 0
	s_branch .LBB5_16
.LBB5_13:                               ;   in Loop: Header=BB5_16 Depth=1
	s_or_b32 exec_lo, exec_lo, s4
.LBB5_14:                               ;   in Loop: Header=BB5_16 Depth=1
	s_delay_alu instid0(SALU_CYCLE_1)
	s_or_b32 exec_lo, exec_lo, s33
.LBB5_15:                               ;   in Loop: Header=BB5_16 Depth=1
	s_delay_alu instid0(SALU_CYCLE_1)
	s_or_b32 exec_lo, exec_lo, s31
	v_add_co_u32 v5, vcc_lo, v5, s18
	v_add_nc_u32_e32 v16, 16, v16
	v_add_co_ci_u32_e32 v6, vcc_lo, s19, v6, vcc_lo
	v_add_co_u32 v9, vcc_lo, v9, s20
	v_add_co_ci_u32_e32 v10, vcc_lo, s21, v10, vcc_lo
	s_delay_alu instid0(VALU_DEP_4)
	v_cmp_le_i32_e32 vcc_lo, s5, v16
	v_add_co_u32 v4, s4, v4, s24
	v_add_nc_u32_e32 v2, -16, v2
	v_add_co_ci_u32_e64 v20, s4, s25, v20, s4
	s_add_u32 s22, s22, -16
	s_addc_u32 s23, s23, -1
	s_or_b32 s28, vcc_lo, s28
	s_delay_alu instid0(SALU_CYCLE_1)
	s_and_not1_b32 exec_lo, exec_lo, s28
	s_cbranch_execz .LBB5_41
.LBB5_16:                               ; =>This Inner Loop Header: Depth=1
	s_and_saveexec_b32 s31, s3
	s_cbranch_execz .LBB5_15
; %bb.17:                               ;   in Loop: Header=BB5_16 Depth=1
	v_cmp_lt_i32_e32 vcc_lo, v16, v0
	v_cmp_gt_i32_e64 s4, v16, v0
	s_or_b32 s33, vcc_lo, s29
	s_delay_alu instid0(VALU_DEP_1) | instskip(NEXT) | instid1(SALU_CYCLE_1)
	s_or_b32 s4, s4, s2
	s_and_b32 s4, s33, s4
	s_delay_alu instid0(SALU_CYCLE_1) | instskip(NEXT) | instid1(SALU_CYCLE_1)
	s_xor_b32 s4, s4, -1
	s_and_saveexec_b32 s33, s4
	s_delay_alu instid0(SALU_CYCLE_1)
	s_xor_b32 s33, exec_lo, s33
	s_cbranch_execz .LBB5_38
; %bb.18:                               ;   in Loop: Header=BB5_16 Depth=1
	v_add_nc_u32_e32 v11, s22, v17
	s_delay_alu instid0(VALU_DEP_1) | instskip(SKIP_1) | instid1(VALU_DEP_1)
	v_cmp_le_i32_e32 vcc_lo, s6, v11
	v_cmp_gt_i32_e64 s4, 1, v11
	s_or_b32 s4, vcc_lo, s4
	s_delay_alu instid0(SALU_CYCLE_1) | instskip(NEXT) | instid1(SALU_CYCLE_1)
	s_and_saveexec_b32 s34, s4
	s_xor_b32 s4, exec_lo, s34
	s_cbranch_execz .LBB5_35
; %bb.19:                               ;   in Loop: Header=BB5_16 Depth=1
	s_mov_b32 s34, exec_lo
	v_cmpx_ne_u32_e32 0, v11
	s_xor_b32 s34, exec_lo, s34
	s_cbranch_execz .LBB5_28
; %bb.20:                               ;   in Loop: Header=BB5_16 Depth=1
	s_mov_b32 s35, exec_lo
	v_cmpx_eq_u32_e64 s6, v11
	s_cbranch_execz .LBB5_27
; %bb.21:                               ;   in Loop: Header=BB5_16 Depth=1
	s_and_b32 vcc_lo, exec_lo, s29
	s_cbranch_vccz .LBB5_23
; %bb.22:                               ;   in Loop: Header=BB5_16 Depth=1
	v_add_co_u32 v13, vcc_lo, s16, v4
	v_add_co_ci_u32_e32 v14, vcc_lo, s17, v20, vcc_lo
	s_mov_b32 s36, 0
	flat_load_b64 v[21:22], v[5:6]
	flat_load_b64 v[13:14], v[13:14]
	s_waitcnt vmcnt(0) lgkmcnt(0)
	v_mul_f32_e32 v3, v22, v14
	s_delay_alu instid0(VALU_DEP_1) | instskip(NEXT) | instid1(VALU_DEP_1)
	v_fma_f32 v3, v21, v13, -v3
	v_dual_mul_f32 v14, v21, v14 :: v_dual_add_f32 v11, v7, v3
	s_delay_alu instid0(VALU_DEP_1) | instskip(NEXT) | instid1(VALU_DEP_1)
	v_fmac_f32_e32 v14, v22, v13
	v_add_f32_e32 v3, v8, v14
	s_branch .LBB5_24
.LBB5_23:                               ;   in Loop: Header=BB5_16 Depth=1
	s_mov_b32 s36, -1
                                        ; implicit-def: $vgpr3
                                        ; implicit-def: $vgpr11
.LBB5_24:                               ;   in Loop: Header=BB5_16 Depth=1
	s_delay_alu instid0(SALU_CYCLE_1)
	s_and_not1_b32 vcc_lo, exec_lo, s36
	s_cbranch_vccnz .LBB5_26
; %bb.25:                               ;   in Loop: Header=BB5_16 Depth=1
	v_ashrrev_i32_e32 v3, 31, v2
	s_delay_alu instid0(VALU_DEP_1) | instskip(NEXT) | instid1(VALU_DEP_1)
	v_lshlrev_b64 v[13:14], 3, v[2:3]
	v_add_co_u32 v3, vcc_lo, v9, v13
	s_delay_alu instid0(VALU_DEP_2) | instskip(NEXT) | instid1(VALU_DEP_2)
	v_add_co_ci_u32_e32 v11, vcc_lo, v10, v14, vcc_lo
	v_add_co_u32 v13, vcc_lo, s16, v3
	s_delay_alu instid0(VALU_DEP_2)
	v_add_co_ci_u32_e32 v14, vcc_lo, s17, v11, vcc_lo
	flat_load_b64 v[21:22], v[5:6]
	flat_load_b32 v3, v[13:14]
	s_waitcnt vmcnt(0) lgkmcnt(0)
	v_fmac_f32_e32 v8, v3, v22
	v_fmac_f32_e32 v7, v3, v21
	s_delay_alu instid0(VALU_DEP_2) | instskip(NEXT) | instid1(VALU_DEP_2)
	v_mov_b32_e32 v3, v8
	v_mov_b32_e32 v11, v7
.LBB5_26:                               ;   in Loop: Header=BB5_16 Depth=1
	s_delay_alu instid0(VALU_DEP_1) | instskip(NEXT) | instid1(VALU_DEP_2)
	v_mov_b32_e32 v8, v3
	v_mov_b32_e32 v7, v11
.LBB5_27:                               ;   in Loop: Header=BB5_16 Depth=1
	s_or_b32 exec_lo, exec_lo, s35
.LBB5_28:                               ;   in Loop: Header=BB5_16 Depth=1
	s_and_not1_saveexec_b32 s34, s34
	s_cbranch_execz .LBB5_34
; %bb.29:                               ;   in Loop: Header=BB5_16 Depth=1
	v_add_co_u32 v13, vcc_lo, s16, v9
	v_add_co_ci_u32_e32 v14, vcc_lo, s17, v10, vcc_lo
	s_and_not1_b32 vcc_lo, exec_lo, s30
	s_cbranch_vccnz .LBB5_31
; %bb.30:                               ;   in Loop: Header=BB5_16 Depth=1
	flat_load_b32 v11, v[13:14]
	flat_load_b64 v[21:22], v[5:6]
	s_waitcnt vmcnt(0) lgkmcnt(0)
	v_fma_f32 v3, v11, v21, v7
	v_fma_f32 v11, v11, v22, v8
	s_cbranch_execz .LBB5_32
	s_branch .LBB5_33
.LBB5_31:                               ;   in Loop: Header=BB5_16 Depth=1
                                        ; implicit-def: $vgpr11
                                        ; implicit-def: $vgpr3
.LBB5_32:                               ;   in Loop: Header=BB5_16 Depth=1
	flat_load_b64 v[13:14], v[13:14]
	flat_load_b64 v[21:22], v[5:6]
	s_waitcnt vmcnt(0) lgkmcnt(0)
	v_mul_f32_e32 v3, v22, v14
	v_mul_f32_e32 v11, v21, v14
	s_delay_alu instid0(VALU_DEP_2) | instskip(NEXT) | instid1(VALU_DEP_2)
	v_fma_f32 v3, v21, v13, -v3
	v_fmac_f32_e32 v11, v22, v13
	s_delay_alu instid0(VALU_DEP_2) | instskip(NEXT) | instid1(VALU_DEP_2)
	v_add_f32_e32 v3, v7, v3
	v_add_f32_e32 v11, v8, v11
.LBB5_33:                               ;   in Loop: Header=BB5_16 Depth=1
	s_delay_alu instid0(VALU_DEP_1) | instskip(NEXT) | instid1(VALU_DEP_3)
	v_mov_b32_e32 v8, v11
	v_mov_b32_e32 v7, v3
.LBB5_34:                               ;   in Loop: Header=BB5_16 Depth=1
	s_or_b32 exec_lo, exec_lo, s34
.LBB5_35:                               ;   in Loop: Header=BB5_16 Depth=1
	s_and_not1_saveexec_b32 s4, s4
	s_cbranch_execz .LBB5_37
; %bb.36:                               ;   in Loop: Header=BB5_16 Depth=1
	v_lshlrev_b64 v[13:14], 3, v[11:12]
	s_delay_alu instid0(VALU_DEP_1) | instskip(NEXT) | instid1(VALU_DEP_2)
	v_add_co_u32 v3, vcc_lo, v9, v13
	v_add_co_ci_u32_e32 v11, vcc_lo, v10, v14, vcc_lo
	s_delay_alu instid0(VALU_DEP_2) | instskip(NEXT) | instid1(VALU_DEP_2)
	v_add_co_u32 v13, vcc_lo, s16, v3
	v_add_co_ci_u32_e32 v14, vcc_lo, s17, v11, vcc_lo
	flat_load_b64 v[21:22], v[5:6]
	flat_load_b64 v[13:14], v[13:14]
	s_waitcnt vmcnt(0) lgkmcnt(0)
	v_mul_f32_e32 v11, v21, v14
	s_delay_alu instid0(VALU_DEP_1) | instskip(NEXT) | instid1(VALU_DEP_1)
	v_fmac_f32_e32 v11, v22, v13
	v_dual_mul_f32 v3, v22, v14 :: v_dual_add_f32 v8, v8, v11
	s_delay_alu instid0(VALU_DEP_1) | instskip(NEXT) | instid1(VALU_DEP_1)
	v_fma_f32 v3, v21, v13, -v3
	v_add_f32_e32 v7, v7, v3
.LBB5_37:                               ;   in Loop: Header=BB5_16 Depth=1
	s_or_b32 exec_lo, exec_lo, s4
.LBB5_38:                               ;   in Loop: Header=BB5_16 Depth=1
	s_and_not1_saveexec_b32 s33, s33
	s_cbranch_execz .LBB5_14
; %bb.39:                               ;   in Loop: Header=BB5_16 Depth=1
	v_add_nc_u32_e32 v11, v19, v16
	s_delay_alu instid0(VALU_DEP_1) | instskip(SKIP_1) | instid1(VALU_DEP_1)
	v_cmp_ge_i32_e32 vcc_lo, s6, v11
	v_cmp_lt_i32_e64 s4, -1, v11
	s_and_b32 s34, vcc_lo, s4
	s_delay_alu instid0(SALU_CYCLE_1)
	s_and_saveexec_b32 s4, s34
	s_cbranch_execz .LBB5_13
; %bb.40:                               ;   in Loop: Header=BB5_16 Depth=1
	v_lshlrev_b64 v[13:14], 3, v[11:12]
	s_delay_alu instid0(VALU_DEP_1) | instskip(NEXT) | instid1(VALU_DEP_2)
	v_add_co_u32 v13, vcc_lo, v1, v13
	v_add_co_ci_u32_e32 v14, vcc_lo, v18, v14, vcc_lo
	flat_load_b64 v[21:22], v[5:6]
	flat_load_b64 v[13:14], v[13:14]
	s_waitcnt vmcnt(0) lgkmcnt(0)
	v_mul_f32_e32 v11, v14, v21
	s_delay_alu instid0(VALU_DEP_1) | instskip(NEXT) | instid1(VALU_DEP_1)
	v_fma_f32 v11, v13, v22, -v11
	v_dual_mul_f32 v3, v14, v22 :: v_dual_add_f32 v8, v8, v11
	s_delay_alu instid0(VALU_DEP_1) | instskip(NEXT) | instid1(VALU_DEP_1)
	v_fmac_f32_e32 v3, v13, v21
	v_add_f32_e32 v7, v7, v3
	s_branch .LBB5_13
.LBB5_41:
	s_or_b32 exec_lo, exec_lo, s28
.LBB5_42:
	s_delay_alu instid0(SALU_CYCLE_1)
	s_or_b32 exec_lo, exec_lo, s27
	v_lshlrev_b32_e32 v0, 3, v15
	ds_store_b64 v0, v[7:8]
	s_waitcnt lgkmcnt(0)
	s_barrier
	buffer_gl0_inv
.LBB5_43:
	s_mov_b32 s2, exec_lo
	v_cmpx_gt_u32_e32 64, v15
	s_cbranch_execz .LBB5_55
; %bb.44:
	s_load_b64 s[2:3], s[0:1], 0x70
	v_lshl_or_b32 v4, s14, 6, v15
	s_lshl_b64 s[10:11], s[10:11], 3
	s_mov_b32 s6, -1
	s_waitcnt lgkmcnt(0)
	s_add_u32 s1, s8, s10
	s_addc_u32 s4, s9, s11
	v_cmp_gt_i32_e64 s0, s5, v4
	s_and_b32 vcc_lo, exec_lo, s26
	s_cbranch_vccz .LBB5_50
; %bb.45:
	s_delay_alu instid0(VALU_DEP_1)
	s_and_saveexec_b32 s6, s0
	s_cbranch_execz .LBB5_49
; %bb.46:
	v_ashrrev_i32_e32 v0, 31, v4
	v_mul_lo_u32 v2, v4, s3
	v_cmp_neq_f32_e64 s0, s12, 0
	v_cmp_neq_f32_e64 s8, s13, 0
	s_delay_alu instid0(VALU_DEP_4) | instskip(SKIP_1) | instid1(VALU_DEP_3)
	v_mul_lo_u32 v3, v0, s2
	v_mad_u64_u32 v[0:1], null, v4, s2, 0
	s_or_b32 s0, s0, s8
	s_delay_alu instid0(SALU_CYCLE_1) | instskip(NEXT) | instid1(VALU_DEP_1)
	s_and_not1_b32 vcc_lo, exec_lo, s0
	v_add3_u32 v1, v1, v2, v3
	v_dual_mov_b32 v3, 0 :: v_dual_mov_b32 v2, 0
	s_delay_alu instid0(VALU_DEP_2)
	v_lshlrev_b64 v[0:1], 3, v[0:1]
	s_cbranch_vccnz .LBB5_48
; %bb.47:
	s_delay_alu instid0(VALU_DEP_1) | instskip(NEXT) | instid1(VALU_DEP_2)
	v_add_co_u32 v2, vcc_lo, s1, v0
	v_add_co_ci_u32_e32 v3, vcc_lo, s4, v1, vcc_lo
	global_load_b64 v[5:6], v[2:3], off
	s_waitcnt vmcnt(0)
	v_mul_f32_e32 v3, s12, v6
	s_delay_alu instid0(VALU_DEP_1) | instskip(NEXT) | instid1(VALU_DEP_1)
	v_dual_mul_f32 v2, s13, v6 :: v_dual_fmac_f32 v3, s13, v5
	v_fma_f32 v2, s12, v5, -v2
.LBB5_48:
	s_delay_alu instid0(VALU_DEP_1) | instskip(NEXT) | instid1(VALU_DEP_2)
	v_add_co_u32 v0, vcc_lo, s1, v0
	v_add_co_ci_u32_e32 v1, vcc_lo, s4, v1, vcc_lo
	global_store_b64 v[0:1], v[2:3], off
.LBB5_49:
	s_or_b32 exec_lo, exec_lo, s6
	s_mov_b32 s6, 0
.LBB5_50:
	s_delay_alu instid0(SALU_CYCLE_1)
	s_and_not1_b32 vcc_lo, exec_lo, s6
	s_cbranch_vccnz .LBB5_55
; %bb.51:
	v_lshlrev_b32_e32 v13, 3, v15
	v_cmp_gt_i32_e32 vcc_lo, s5, v4
	ds_load_2addr_stride64_b64 v[0:3], v13 offset1:1
	ds_load_2addr_stride64_b64 v[5:8], v13 offset0:2 offset1:3
	ds_load_2addr_stride64_b64 v[9:12], v13 offset0:4 offset1:5
	s_waitcnt lgkmcnt(2)
	v_add_f32_e32 v0, v0, v2
	s_waitcnt lgkmcnt(1)
	s_delay_alu instid0(VALU_DEP_1) | instskip(SKIP_3) | instid1(VALU_DEP_1)
	v_dual_add_f32 v14, v1, v3 :: v_dual_add_f32 v5, v0, v5
	ds_load_2addr_stride64_b64 v[0:3], v13 offset0:6 offset1:7
	v_dual_add_f32 v6, v14, v6 :: v_dual_add_f32 v5, v5, v7
	s_waitcnt lgkmcnt(1)
	v_dual_add_f32 v14, v6, v8 :: v_dual_add_f32 v9, v5, v9
	ds_load_2addr_stride64_b64 v[5:8], v13 offset0:8 offset1:9
	v_dual_add_f32 v10, v14, v10 :: v_dual_add_f32 v9, v9, v11
	s_waitcnt lgkmcnt(1)
	s_delay_alu instid0(VALU_DEP_1) | instskip(NEXT) | instid1(VALU_DEP_1)
	v_add_f32_e32 v0, v9, v0
	v_add_f32_e32 v0, v0, v2
	s_delay_alu instid0(VALU_DEP_3) | instskip(SKIP_4) | instid1(VALU_DEP_1)
	v_add_f32_e32 v14, v10, v12
	ds_load_2addr_stride64_b64 v[9:12], v13 offset0:10 offset1:11
	s_waitcnt lgkmcnt(1)
	v_add_f32_e32 v5, v0, v5
	v_add_f32_e32 v1, v14, v1
	;; [unrolled: 1-line block ×3, first 2 shown]
	ds_load_2addr_stride64_b64 v[0:3], v13 offset0:12 offset1:13
	v_add_f32_e32 v6, v14, v6
	v_add_f32_e32 v14, v5, v7
	s_waitcnt lgkmcnt(1)
	s_delay_alu instid0(VALU_DEP_1) | instskip(NEXT) | instid1(VALU_DEP_1)
	v_add_f32_e32 v9, v14, v9
	v_add_f32_e32 v9, v9, v11
	;; [unrolled: 1-line block ×3, first 2 shown]
	ds_load_2addr_stride64_b64 v[5:8], v13 offset0:14 offset1:15
	s_waitcnt lgkmcnt(1)
	v_add_f32_e32 v0, v9, v0
	v_add_f32_e32 v10, v15, v10
	s_delay_alu instid0(VALU_DEP_1) | instskip(NEXT) | instid1(VALU_DEP_1)
	v_add_f32_e32 v10, v10, v12
	v_add_f32_e32 v1, v10, v1
	s_delay_alu instid0(VALU_DEP_1) | instskip(SKIP_1) | instid1(VALU_DEP_1)
	v_add_f32_e32 v1, v1, v3
	s_waitcnt lgkmcnt(0)
	v_add_f32_e32 v1, v1, v6
	s_delay_alu instid0(VALU_DEP_1) | instskip(NEXT) | instid1(VALU_DEP_1)
	v_dual_add_f32 v0, v0, v2 :: v_dual_add_f32 v1, v1, v8
	v_add_f32_e32 v0, v0, v5
	s_delay_alu instid0(VALU_DEP_1)
	v_add_f32_e32 v0, v0, v7
	ds_store_b64 v13, v[0:1]
	s_and_b32 exec_lo, exec_lo, vcc_lo
	s_cbranch_execz .LBB5_55
; %bb.52:
	v_ashrrev_i32_e32 v2, 31, v4
	v_mul_lo_u32 v3, v4, s3
	v_mad_u64_u32 v[5:6], null, v4, s2, 0
	v_mul_f32_e32 v4, s15, v1
	s_delay_alu instid0(VALU_DEP_4) | instskip(SKIP_2) | instid1(VALU_DEP_1)
	v_mul_lo_u32 v2, v2, s2
	v_cmp_neq_f32_e64 s0, s12, 0
	v_cmp_neq_f32_e64 s5, s13, 0
	s_or_b32 s0, s0, s5
	s_delay_alu instid0(VALU_DEP_3) | instskip(SKIP_3) | instid1(VALU_DEP_3)
	v_add3_u32 v6, v6, v3, v2
	v_mul_f32_e32 v2, s7, v1
	v_fma_f32 v1, v0, s7, -v4
	s_and_not1_b32 vcc_lo, exec_lo, s0
	v_lshlrev_b64 v[3:4], 3, v[5:6]
	s_delay_alu instid0(VALU_DEP_3)
	v_fmac_f32_e32 v2, s15, v0
	s_cbranch_vccnz .LBB5_54
; %bb.53:
	s_delay_alu instid0(VALU_DEP_2) | instskip(NEXT) | instid1(VALU_DEP_3)
	v_add_co_u32 v5, vcc_lo, s1, v3
	v_add_co_ci_u32_e32 v6, vcc_lo, s4, v4, vcc_lo
	global_load_b64 v[5:6], v[5:6], off
	s_waitcnt vmcnt(0)
	v_mul_f32_e32 v0, s13, v6
	s_delay_alu instid0(VALU_DEP_1) | instskip(NEXT) | instid1(VALU_DEP_1)
	v_fma_f32 v0, s12, v5, -v0
	v_dual_mul_f32 v6, s12, v6 :: v_dual_add_f32 v1, v1, v0
	s_delay_alu instid0(VALU_DEP_1) | instskip(NEXT) | instid1(VALU_DEP_1)
	v_fmac_f32_e32 v6, s13, v5
	v_add_f32_e32 v2, v2, v6
.LBB5_54:
	s_delay_alu instid0(VALU_DEP_2) | instskip(NEXT) | instid1(VALU_DEP_3)
	v_add_co_u32 v3, vcc_lo, s1, v3
	v_add_co_ci_u32_e32 v4, vcc_lo, s4, v4, vcc_lo
	global_store_b64 v[3:4], v[1:2], off
.LBB5_55:
	s_nop 0
	s_sendmsg sendmsg(MSG_DEALLOC_VGPRS)
	s_endpgm
	.section	.rodata,"a",@progbits
	.p2align	6, 0x0
	.amdhsa_kernel _ZL20rocblas_hbmvn_kernelILi64ELi16E19rocblas_complex_numIfEPKPKS1_PKPS1_EvbiiT1_T2_lllSA_lllS9_T3_llli
		.amdhsa_group_segment_fixed_size 8192
		.amdhsa_private_segment_fixed_size 0
		.amdhsa_kernarg_size 392
		.amdhsa_user_sgpr_count 14
		.amdhsa_user_sgpr_dispatch_ptr 0
		.amdhsa_user_sgpr_queue_ptr 0
		.amdhsa_user_sgpr_kernarg_segment_ptr 1
		.amdhsa_user_sgpr_dispatch_id 0
		.amdhsa_user_sgpr_private_segment_size 0
		.amdhsa_wavefront_size32 1
		.amdhsa_uses_dynamic_stack 0
		.amdhsa_enable_private_segment 0
		.amdhsa_system_sgpr_workgroup_id_x 1
		.amdhsa_system_sgpr_workgroup_id_y 0
		.amdhsa_system_sgpr_workgroup_id_z 1
		.amdhsa_system_sgpr_workgroup_info 0
		.amdhsa_system_vgpr_workitem_id 1
		.amdhsa_next_free_vgpr 23
		.amdhsa_next_free_sgpr 37
		.amdhsa_reserve_vcc 1
		.amdhsa_float_round_mode_32 0
		.amdhsa_float_round_mode_16_64 0
		.amdhsa_float_denorm_mode_32 3
		.amdhsa_float_denorm_mode_16_64 3
		.amdhsa_dx10_clamp 1
		.amdhsa_ieee_mode 1
		.amdhsa_fp16_overflow 0
		.amdhsa_workgroup_processor_mode 1
		.amdhsa_memory_ordered 1
		.amdhsa_forward_progress 0
		.amdhsa_shared_vgpr_count 0
		.amdhsa_exception_fp_ieee_invalid_op 0
		.amdhsa_exception_fp_denorm_src 0
		.amdhsa_exception_fp_ieee_div_zero 0
		.amdhsa_exception_fp_ieee_overflow 0
		.amdhsa_exception_fp_ieee_underflow 0
		.amdhsa_exception_fp_ieee_inexact 0
		.amdhsa_exception_int_div_zero 0
	.end_amdhsa_kernel
	.section	.text._ZL20rocblas_hbmvn_kernelILi64ELi16E19rocblas_complex_numIfEPKPKS1_PKPS1_EvbiiT1_T2_lllSA_lllS9_T3_llli,"axG",@progbits,_ZL20rocblas_hbmvn_kernelILi64ELi16E19rocblas_complex_numIfEPKPKS1_PKPS1_EvbiiT1_T2_lllSA_lllS9_T3_llli,comdat
.Lfunc_end5:
	.size	_ZL20rocblas_hbmvn_kernelILi64ELi16E19rocblas_complex_numIfEPKPKS1_PKPS1_EvbiiT1_T2_lllSA_lllS9_T3_llli, .Lfunc_end5-_ZL20rocblas_hbmvn_kernelILi64ELi16E19rocblas_complex_numIfEPKPKS1_PKPS1_EvbiiT1_T2_lllSA_lllS9_T3_llli
                                        ; -- End function
	.section	.AMDGPU.csdata,"",@progbits
; Kernel info:
; codeLenInByte = 2396
; NumSgprs: 39
; NumVgprs: 23
; ScratchSize: 0
; MemoryBound: 0
; FloatMode: 240
; IeeeMode: 1
; LDSByteSize: 8192 bytes/workgroup (compile time only)
; SGPRBlocks: 4
; VGPRBlocks: 2
; NumSGPRsForWavesPerEU: 39
; NumVGPRsForWavesPerEU: 23
; Occupancy: 16
; WaveLimiterHint : 1
; COMPUTE_PGM_RSRC2:SCRATCH_EN: 0
; COMPUTE_PGM_RSRC2:USER_SGPR: 14
; COMPUTE_PGM_RSRC2:TRAP_HANDLER: 0
; COMPUTE_PGM_RSRC2:TGID_X_EN: 1
; COMPUTE_PGM_RSRC2:TGID_Y_EN: 0
; COMPUTE_PGM_RSRC2:TGID_Z_EN: 1
; COMPUTE_PGM_RSRC2:TIDIG_COMP_CNT: 1
	.section	.text._ZL20rocblas_hbmvn_kernelILi64ELi16EPK19rocblas_complex_numIdEPKS3_PKPS1_EvbiiT1_T2_lllSA_lllS9_T3_llli,"axG",@progbits,_ZL20rocblas_hbmvn_kernelILi64ELi16EPK19rocblas_complex_numIdEPKS3_PKPS1_EvbiiT1_T2_lllSA_lllS9_T3_llli,comdat
	.globl	_ZL20rocblas_hbmvn_kernelILi64ELi16EPK19rocblas_complex_numIdEPKS3_PKPS1_EvbiiT1_T2_lllSA_lllS9_T3_llli ; -- Begin function _ZL20rocblas_hbmvn_kernelILi64ELi16EPK19rocblas_complex_numIdEPKS3_PKPS1_EvbiiT1_T2_lllSA_lllS9_T3_llli
	.p2align	8
	.type	_ZL20rocblas_hbmvn_kernelILi64ELi16EPK19rocblas_complex_numIdEPKS3_PKPS1_EvbiiT1_T2_lllSA_lllS9_T3_llli,@function
_ZL20rocblas_hbmvn_kernelILi64ELi16EPK19rocblas_complex_numIdEPKS3_PKPS1_EvbiiT1_T2_lllSA_lllS9_T3_llli: ; @_ZL20rocblas_hbmvn_kernelILi64ELi16EPK19rocblas_complex_numIdEPKS3_PKPS1_EvbiiT1_T2_lllSA_lllS9_T3_llli
; %bb.0:
	s_load_b64 s[4:5], s[0:1], 0x94
	s_waitcnt lgkmcnt(0)
	s_lshr_b32 s3, s4, 16
	s_and_b32 s33, s4, 0xffff
	s_and_b32 s4, s5, 0xffff
	s_mul_i32 s3, s3, s33
	s_delay_alu instid0(SALU_CYCLE_1) | instskip(NEXT) | instid1(SALU_CYCLE_1)
	s_mul_i32 s3, s3, s4
	s_cmpk_lg_i32 s3, 0x400
	s_cbranch_scc1 .LBB6_58
; %bb.1:
	s_clause 0x1
	s_load_b256 s[16:23], s[0:1], 0x10
	s_load_b256 s[4:11], s[0:1], 0x58
	s_mov_b32 s2, s15
	s_waitcnt lgkmcnt(0)
	s_load_b128 s[28:31], s[16:17], 0x0
	s_load_b128 s[24:27], s[4:5], 0x0
	s_waitcnt lgkmcnt(0)
	v_cmp_neq_f64_e64 s3, s[28:29], 0
	v_cmp_neq_f64_e64 s12, s[30:31], 0
	s_delay_alu instid0(VALU_DEP_1)
	s_or_b32 s4, s3, s12
	s_mov_b32 s3, -1
	s_and_b32 vcc_lo, exec_lo, s4
	s_cbranch_vccnz .LBB6_3
; %bb.2:
	v_cmp_neq_f64_e64 s3, s[24:25], 1.0
	v_cmp_neq_f64_e64 s5, s[26:27], 0
	s_delay_alu instid0(VALU_DEP_1)
	s_or_b32 s3, s3, s5
.LBB6_3:
	s_delay_alu instid0(SALU_CYCLE_1)
	s_and_not1_b32 vcc_lo, exec_lo, s3
	s_cbranch_vccnz .LBB6_58
; %bb.4:
	s_xor_b32 s15, s4, -1
	s_delay_alu instid0(SALU_CYCLE_1)
	s_and_not1_b32 vcc_lo, exec_lo, s15
	s_cbranch_vccnz .LBB6_6
; %bb.5:
	s_mov_b32 s3, 0
	s_mov_b64 s[12:13], 0
	s_cbranch_execz .LBB6_7
	s_branch .LBB6_8
.LBB6_6:
	s_mov_b32 s3, -1
                                        ; implicit-def: $sgpr12_sgpr13
.LBB6_7:
	s_mov_b32 s3, 0
	s_delay_alu instid0(SALU_CYCLE_1) | instskip(NEXT) | instid1(SALU_CYCLE_1)
	s_lshl_b64 s[12:13], s[2:3], 3
	s_add_u32 s12, s18, s12
	s_addc_u32 s13, s19, s13
	s_lshl_b64 s[16:17], s[20:21], 4
	s_load_b64 s[12:13], s[12:13], 0x0
	s_waitcnt lgkmcnt(0)
	s_add_u32 s12, s12, s16
	s_addc_u32 s13, s13, s17
.LBB6_8:
	s_clause 0x1
	s_load_b128 s[16:19], s[0:1], 0x38
	s_load_b64 s[20:21], s[0:1], 0x48
	v_cndmask_b32_e64 v1, 0, 1, s4
	s_and_not1_b32 vcc_lo, exec_lo, s4
	s_mov_b64 s[34:35], 0
	s_cbranch_vccnz .LBB6_10
; %bb.9:
	s_lshl_b64 s[4:5], s[2:3], 3
	s_waitcnt lgkmcnt(0)
	s_add_u32 s4, s16, s4
	s_addc_u32 s5, s17, s5
	s_lshl_b64 s[16:17], s[18:19], 4
	s_load_b64 s[4:5], s[4:5], 0x0
	s_waitcnt lgkmcnt(0)
	s_add_u32 s34, s4, s16
	s_addc_u32 s35, s5, s17
.LBB6_10:
	s_lshl_b64 s[2:3], s[2:3], 3
	v_and_b32_e32 v2, 0x3ff, v0
	s_add_u32 s2, s6, s2
	s_addc_u32 s3, s7, s3
	s_load_b128 s[4:7], s[0:1], 0x0
	s_waitcnt lgkmcnt(0)
	s_load_b64 s[16:17], s[2:3], 0x0
	v_bfe_u32 v0, v0, 10, 10
	v_cmp_ne_u32_e32 vcc_lo, 1, v1
	s_delay_alu instid0(VALU_DEP_2)
	v_mad_u32_u24 v21, v0, s33, v2
	s_cbranch_vccnz .LBB6_43
; %bb.11:
	v_mov_b32_e32 v2, 0
	v_mov_b32_e32 v3, 0
	s_delay_alu instid0(VALU_DEP_3) | instskip(NEXT) | instid1(VALU_DEP_3)
	v_lshrrev_b32_e32 v22, 6, v21
	v_mov_b32_e32 v0, v2
	s_mov_b32 s3, exec_lo
	s_delay_alu instid0(VALU_DEP_3) | instskip(NEXT) | instid1(VALU_DEP_3)
	v_mov_b32_e32 v1, v3
	v_cmpx_gt_i32_e64 s5, v22
	s_cbranch_execz .LBB6_42
; %bb.12:
	v_and_b32_e32 v10, 63, v21
	s_lshl_b32 s2, s14, 6
	s_bitcmp1_b32 s4, 0
	v_mad_u64_u32 v[0:1], null, s20, v22, 0
	s_delay_alu instid0(VALU_DEP_2)
	v_or_b32_e32 v4, s2, v10
	v_add3_u32 v2, s6, s2, v10
	s_cselect_b32 s1, -1, 0
	s_mov_b32 s7, 0
	s_and_b32 s4, s1, exec_lo
	v_ashrrev_i32_e32 v5, 31, v4
	v_mul_lo_u32 v9, v4, s23
	v_sub_nc_u32_e32 v6, v2, v22
	v_mad_u64_u32 v[2:3], null, v4, s22, 0
	s_delay_alu instid0(VALU_DEP_4)
	v_mul_lo_u32 v11, v5, s22
	v_sub_nc_u32_e32 v7, v4, v22
	s_cselect_b32 s38, s6, 0
	s_xor_b32 s4, s1, -1
	s_cmp_eq_u32 s6, 0
	v_lshlrev_b64 v[13:14], 4, v[4:5]
	s_cselect_b32 s18, -1, 0
	s_lshl_b64 s[36:37], s[22:23], 4
	v_add3_u32 v3, v3, v9, v11
	v_mad_u64_u32 v[11:12], null, s22, v22, 0
	v_cndmask_b32_e64 v23, v7, v6, s1
	v_mad_u64_u32 v[7:8], null, s21, v22, v[1:2]
	s_or_b32 s33, s18, s4
	s_lshl_b64 s[18:19], s[20:21], 8
	s_lshl_b64 s[20:21], s[22:23], 8
	s_add_u32 s22, s36, -16
	v_lshlrev_b64 v[2:3], 4, v[2:3]
	v_mad_u64_u32 v[8:9], null, v22, s22, v[13:14]
	s_delay_alu instid0(VALU_DEP_3)
	v_mov_b32_e32 v1, v7
	v_mov_b32_e32 v5, v12
	s_addc_u32 s22, s37, -1
	v_sub_nc_u32_e32 v7, s38, v10
	v_cmp_gt_i32_e64 s0, s5, v4
	v_lshlrev_b64 v[0:1], 4, v[0:1]
	v_mad_u64_u32 v[12:13], null, s23, v22, v[5:6]
	v_add_co_u32 v5, vcc_lo, s12, v2
	v_mov_b32_e32 v2, v9
	v_add_co_ci_u32_e32 v24, vcc_lo, s13, v3, vcc_lo
	v_add_co_u32 v9, vcc_lo, s34, v0
	s_delay_alu instid0(VALU_DEP_3)
	v_mad_u64_u32 v[13:14], null, v22, s22, v[2:3]
	v_mov_b32_e32 v2, 0
	v_mov_b32_e32 v3, 0
	v_add_co_ci_u32_e32 v10, vcc_lo, s35, v1, vcc_lo
	v_lshlrev_b64 v[11:12], 4, v[11:12]
	v_subrev_nc_u32_e32 v25, s2, v7
	v_mov_b32_e32 v26, v13
	v_mov_b32_e32 v0, v2
	v_dual_mov_b32 v14, 0 :: v_dual_mov_b32 v1, v3
	s_add_u32 s34, s20, 0xffffff00
	s_addc_u32 s35, s21, -1
	s_mov_b64 s[22:23], 0
	s_branch .LBB6_16
.LBB6_13:                               ;   in Loop: Header=BB6_16 Depth=1
	s_or_b32 exec_lo, exec_lo, s2
.LBB6_14:                               ;   in Loop: Header=BB6_16 Depth=1
	s_delay_alu instid0(SALU_CYCLE_1)
	s_or_b32 exec_lo, exec_lo, s37
.LBB6_15:                               ;   in Loop: Header=BB6_16 Depth=1
	s_delay_alu instid0(SALU_CYCLE_1)
	s_or_b32 exec_lo, exec_lo, s36
	v_add_co_u32 v9, vcc_lo, v9, s18
	v_add_nc_u32_e32 v22, 16, v22
	v_add_co_ci_u32_e32 v10, vcc_lo, s19, v10, vcc_lo
	v_add_co_u32 v11, vcc_lo, v11, s20
	v_add_co_ci_u32_e32 v12, vcc_lo, s21, v12, vcc_lo
	s_delay_alu instid0(VALU_DEP_4)
	v_cmp_le_i32_e32 vcc_lo, s5, v22
	v_add_co_u32 v8, s2, v8, s34
	v_add_nc_u32_e32 v6, -16, v6
	v_add_co_ci_u32_e64 v26, s2, s35, v26, s2
	s_add_u32 s22, s22, -16
	s_addc_u32 s23, s23, -1
	s_or_b32 s7, vcc_lo, s7
	s_delay_alu instid0(SALU_CYCLE_1)
	s_and_not1_b32 exec_lo, exec_lo, s7
	s_cbranch_execz .LBB6_41
.LBB6_16:                               ; =>This Inner Loop Header: Depth=1
	s_and_saveexec_b32 s36, s0
	s_cbranch_execz .LBB6_15
; %bb.17:                               ;   in Loop: Header=BB6_16 Depth=1
	v_cmp_lt_i32_e32 vcc_lo, v22, v4
	v_cmp_gt_i32_e64 s2, v22, v4
	s_or_b32 s37, vcc_lo, s4
	s_delay_alu instid0(VALU_DEP_1) | instskip(NEXT) | instid1(SALU_CYCLE_1)
	s_or_b32 s2, s2, s1
	s_and_b32 s2, s37, s2
	s_delay_alu instid0(SALU_CYCLE_1) | instskip(NEXT) | instid1(SALU_CYCLE_1)
	s_xor_b32 s2, s2, -1
	s_and_saveexec_b32 s37, s2
	s_delay_alu instid0(SALU_CYCLE_1)
	s_xor_b32 s37, exec_lo, s37
	s_cbranch_execz .LBB6_38
; %bb.18:                               ;   in Loop: Header=BB6_16 Depth=1
	v_add_nc_u32_e32 v13, s22, v23
	s_delay_alu instid0(VALU_DEP_1) | instskip(SKIP_1) | instid1(VALU_DEP_1)
	v_cmp_le_i32_e32 vcc_lo, s6, v13
	v_cmp_gt_i32_e64 s2, 1, v13
	s_or_b32 s2, vcc_lo, s2
	s_delay_alu instid0(SALU_CYCLE_1) | instskip(NEXT) | instid1(SALU_CYCLE_1)
	s_and_saveexec_b32 s38, s2
	s_xor_b32 s2, exec_lo, s38
	s_cbranch_execz .LBB6_35
; %bb.19:                               ;   in Loop: Header=BB6_16 Depth=1
	s_mov_b32 s38, exec_lo
	v_cmpx_ne_u32_e32 0, v13
	s_xor_b32 s38, exec_lo, s38
	s_cbranch_execz .LBB6_28
; %bb.20:                               ;   in Loop: Header=BB6_16 Depth=1
	s_mov_b32 s39, exec_lo
	v_cmpx_eq_u32_e64 s6, v13
	s_cbranch_execz .LBB6_27
; %bb.21:                               ;   in Loop: Header=BB6_16 Depth=1
	s_and_b32 vcc_lo, exec_lo, s4
	s_cbranch_vccz .LBB6_23
; %bb.22:                               ;   in Loop: Header=BB6_16 Depth=1
	v_add_co_u32 v19, vcc_lo, s12, v8
	v_add_co_ci_u32_e32 v20, vcc_lo, s13, v26, vcc_lo
	s_mov_b32 s40, 0
	flat_load_b128 v[15:18], v[9:10]
	flat_load_b128 v[27:30], v[19:20]
	s_waitcnt vmcnt(0) lgkmcnt(0)
	v_mul_f64 v[19:20], v[17:18], v[29:30]
	v_mul_f64 v[29:30], v[15:16], v[29:30]
	s_delay_alu instid0(VALU_DEP_2) | instskip(NEXT) | instid1(VALU_DEP_2)
	v_fma_f64 v[15:16], v[15:16], v[27:28], -v[19:20]
	v_fma_f64 v[17:18], v[17:18], v[27:28], v[29:30]
	s_delay_alu instid0(VALU_DEP_2) | instskip(NEXT) | instid1(VALU_DEP_2)
	v_add_f64 v[15:16], v[0:1], v[15:16]
	v_add_f64 v[17:18], v[2:3], v[17:18]
	s_branch .LBB6_24
.LBB6_23:                               ;   in Loop: Header=BB6_16 Depth=1
	s_mov_b32 s40, -1
                                        ; implicit-def: $vgpr17_vgpr18
                                        ; implicit-def: $vgpr15_vgpr16
.LBB6_24:                               ;   in Loop: Header=BB6_16 Depth=1
	s_delay_alu instid0(SALU_CYCLE_1)
	s_and_not1_b32 vcc_lo, exec_lo, s40
	s_cbranch_vccnz .LBB6_26
; %bb.25:                               ;   in Loop: Header=BB6_16 Depth=1
	v_ashrrev_i32_e32 v7, 31, v6
	s_delay_alu instid0(VALU_DEP_1) | instskip(NEXT) | instid1(VALU_DEP_1)
	v_lshlrev_b64 v[15:16], 4, v[6:7]
	v_add_co_u32 v7, vcc_lo, v11, v15
	s_delay_alu instid0(VALU_DEP_2) | instskip(NEXT) | instid1(VALU_DEP_2)
	v_add_co_ci_u32_e32 v13, vcc_lo, v12, v16, vcc_lo
	v_add_co_u32 v19, vcc_lo, s12, v7
	s_delay_alu instid0(VALU_DEP_2)
	v_add_co_ci_u32_e32 v20, vcc_lo, s13, v13, vcc_lo
	flat_load_b128 v[15:18], v[9:10]
	flat_load_b64 v[19:20], v[19:20]
	s_waitcnt vmcnt(0) lgkmcnt(0)
	v_fma_f64 v[15:16], v[19:20], v[15:16], v[0:1]
	v_fma_f64 v[17:18], v[19:20], v[17:18], v[2:3]
.LBB6_26:                               ;   in Loop: Header=BB6_16 Depth=1
	s_delay_alu instid0(VALU_DEP_1) | instskip(NEXT) | instid1(VALU_DEP_3)
	v_dual_mov_b32 v2, v17 :: v_dual_mov_b32 v3, v18
	v_dual_mov_b32 v0, v15 :: v_dual_mov_b32 v1, v16
.LBB6_27:                               ;   in Loop: Header=BB6_16 Depth=1
	s_or_b32 exec_lo, exec_lo, s39
.LBB6_28:                               ;   in Loop: Header=BB6_16 Depth=1
	s_and_not1_saveexec_b32 s38, s38
	s_cbranch_execz .LBB6_34
; %bb.29:                               ;   in Loop: Header=BB6_16 Depth=1
	v_add_co_u32 v15, vcc_lo, s12, v11
	v_add_co_ci_u32_e32 v16, vcc_lo, s13, v12, vcc_lo
	s_and_not1_b32 vcc_lo, exec_lo, s33
	s_cbranch_vccnz .LBB6_31
; %bb.30:                               ;   in Loop: Header=BB6_16 Depth=1
	flat_load_b64 v[27:28], v[15:16]
	flat_load_b128 v[17:20], v[9:10]
	s_waitcnt vmcnt(0) lgkmcnt(0)
	v_fma_f64 v[17:18], v[27:28], v[17:18], v[0:1]
	v_fma_f64 v[19:20], v[27:28], v[19:20], v[2:3]
	s_cbranch_execz .LBB6_32
	s_branch .LBB6_33
.LBB6_31:                               ;   in Loop: Header=BB6_16 Depth=1
                                        ; implicit-def: $vgpr19_vgpr20
                                        ; implicit-def: $vgpr17_vgpr18
.LBB6_32:                               ;   in Loop: Header=BB6_16 Depth=1
	flat_load_b128 v[17:20], v[9:10]
	flat_load_b128 v[27:30], v[15:16]
	s_waitcnt vmcnt(0) lgkmcnt(0)
	v_mul_f64 v[15:16], v[19:20], v[29:30]
	v_mul_f64 v[29:30], v[17:18], v[29:30]
	s_delay_alu instid0(VALU_DEP_2) | instskip(NEXT) | instid1(VALU_DEP_2)
	v_fma_f64 v[15:16], v[17:18], v[27:28], -v[15:16]
	v_fma_f64 v[19:20], v[19:20], v[27:28], v[29:30]
	s_delay_alu instid0(VALU_DEP_2) | instskip(NEXT) | instid1(VALU_DEP_2)
	v_add_f64 v[17:18], v[0:1], v[15:16]
	v_add_f64 v[19:20], v[2:3], v[19:20]
.LBB6_33:                               ;   in Loop: Header=BB6_16 Depth=1
	s_delay_alu instid0(VALU_DEP_1) | instskip(NEXT) | instid1(VALU_DEP_3)
	v_dual_mov_b32 v2, v19 :: v_dual_mov_b32 v3, v20
	v_dual_mov_b32 v0, v17 :: v_dual_mov_b32 v1, v18
.LBB6_34:                               ;   in Loop: Header=BB6_16 Depth=1
	s_or_b32 exec_lo, exec_lo, s38
.LBB6_35:                               ;   in Loop: Header=BB6_16 Depth=1
	s_and_not1_saveexec_b32 s2, s2
	s_cbranch_execz .LBB6_37
; %bb.36:                               ;   in Loop: Header=BB6_16 Depth=1
	v_lshlrev_b64 v[15:16], 4, v[13:14]
	s_delay_alu instid0(VALU_DEP_1) | instskip(NEXT) | instid1(VALU_DEP_2)
	v_add_co_u32 v7, vcc_lo, v11, v15
	v_add_co_ci_u32_e32 v13, vcc_lo, v12, v16, vcc_lo
	s_delay_alu instid0(VALU_DEP_2) | instskip(NEXT) | instid1(VALU_DEP_2)
	v_add_co_u32 v19, vcc_lo, s12, v7
	v_add_co_ci_u32_e32 v20, vcc_lo, s13, v13, vcc_lo
	flat_load_b128 v[15:18], v[9:10]
	flat_load_b128 v[27:30], v[19:20]
	s_waitcnt vmcnt(0) lgkmcnt(0)
	v_mul_f64 v[19:20], v[17:18], v[29:30]
	v_mul_f64 v[29:30], v[15:16], v[29:30]
	s_delay_alu instid0(VALU_DEP_2) | instskip(NEXT) | instid1(VALU_DEP_2)
	v_fma_f64 v[15:16], v[15:16], v[27:28], -v[19:20]
	v_fma_f64 v[17:18], v[17:18], v[27:28], v[29:30]
	s_delay_alu instid0(VALU_DEP_2) | instskip(NEXT) | instid1(VALU_DEP_2)
	v_add_f64 v[0:1], v[0:1], v[15:16]
	v_add_f64 v[2:3], v[2:3], v[17:18]
.LBB6_37:                               ;   in Loop: Header=BB6_16 Depth=1
	s_or_b32 exec_lo, exec_lo, s2
.LBB6_38:                               ;   in Loop: Header=BB6_16 Depth=1
	s_and_not1_saveexec_b32 s37, s37
	s_cbranch_execz .LBB6_14
; %bb.39:                               ;   in Loop: Header=BB6_16 Depth=1
	v_add_nc_u32_e32 v13, v25, v22
	s_delay_alu instid0(VALU_DEP_1) | instskip(SKIP_1) | instid1(VALU_DEP_1)
	v_cmp_ge_i32_e32 vcc_lo, s6, v13
	v_cmp_lt_i32_e64 s2, -1, v13
	s_and_b32 s38, vcc_lo, s2
	s_delay_alu instid0(SALU_CYCLE_1)
	s_and_saveexec_b32 s2, s38
	s_cbranch_execz .LBB6_13
; %bb.40:                               ;   in Loop: Header=BB6_16 Depth=1
	v_lshlrev_b64 v[15:16], 4, v[13:14]
	s_delay_alu instid0(VALU_DEP_1) | instskip(NEXT) | instid1(VALU_DEP_2)
	v_add_co_u32 v19, vcc_lo, v5, v15
	v_add_co_ci_u32_e32 v20, vcc_lo, v24, v16, vcc_lo
	flat_load_b128 v[15:18], v[9:10]
	flat_load_b128 v[27:30], v[19:20]
	s_waitcnt vmcnt(0) lgkmcnt(0)
	v_mul_f64 v[19:20], v[29:30], v[17:18]
	v_mul_f64 v[29:30], v[29:30], v[15:16]
	s_delay_alu instid0(VALU_DEP_2) | instskip(NEXT) | instid1(VALU_DEP_2)
	v_fma_f64 v[15:16], v[27:28], v[15:16], v[19:20]
	v_fma_f64 v[17:18], v[27:28], v[17:18], -v[29:30]
	s_delay_alu instid0(VALU_DEP_2) | instskip(NEXT) | instid1(VALU_DEP_2)
	v_add_f64 v[0:1], v[0:1], v[15:16]
	v_add_f64 v[2:3], v[2:3], v[17:18]
	s_branch .LBB6_13
.LBB6_41:
	s_or_b32 exec_lo, exec_lo, s7
.LBB6_42:
	s_delay_alu instid0(SALU_CYCLE_1)
	s_or_b32 exec_lo, exec_lo, s3
	v_lshlrev_b32_e32 v4, 4, v21
	ds_store_b128 v4, v[0:3]
	s_waitcnt lgkmcnt(0)
	s_barrier
	buffer_gl0_inv
.LBB6_43:
	s_mov_b32 s0, exec_lo
	s_delay_alu instid0(VALU_DEP_1)
	v_cmpx_gt_u32_e32 64, v21
	s_cbranch_execz .LBB6_58
; %bb.44:
	v_lshl_or_b32 v10, s14, 6, v21
	s_lshl_b64 s[2:3], s[8:9], 4
	s_waitcnt lgkmcnt(0)
	s_add_u32 s1, s16, s2
	s_addc_u32 s2, s17, s3
	v_cmp_gt_i32_e64 s0, s5, v10
	s_and_b32 vcc_lo, exec_lo, s15
	s_cbranch_vccz .LBB6_50
; %bb.45:
	s_mov_b32 s4, 0
	s_mov_b32 s3, 0
                                        ; implicit-def: $vgpr2_vgpr3
                                        ; implicit-def: $vgpr8_vgpr9
	s_and_saveexec_b32 s6, s0
	s_delay_alu instid0(SALU_CYCLE_1)
	s_xor_b32 s0, exec_lo, s6
	s_cbranch_execz .LBB6_49
; %bb.46:
	v_cmp_neq_f64_e64 s3, s[24:25], 0
	v_cmp_neq_f64_e64 s6, s[26:27], 0
	v_ashrrev_i32_e32 v0, 31, v10
	v_mul_lo_u32 v1, v10, s11
	v_mad_u64_u32 v[8:9], null, v10, s10, 0
	v_mov_b32_e32 v2, 0
	s_delay_alu instid0(VALU_DEP_4) | instskip(SKIP_1) | instid1(VALU_DEP_2)
	v_mul_lo_u32 v0, v0, s10
	v_mov_b32_e32 v3, 0
	v_add3_u32 v9, v9, v1, v0
	s_delay_alu instid0(VALU_DEP_2) | instskip(SKIP_1) | instid1(SALU_CYCLE_1)
	v_dual_mov_b32 v0, v2 :: v_dual_mov_b32 v1, v3
	s_or_b32 s3, s3, s6
	s_and_not1_b32 vcc_lo, exec_lo, s3
	s_cbranch_vccnz .LBB6_48
; %bb.47:
	v_lshlrev_b64 v[0:1], 4, v[8:9]
	s_delay_alu instid0(VALU_DEP_1) | instskip(NEXT) | instid1(VALU_DEP_2)
	v_add_co_u32 v0, vcc_lo, s1, v0
	v_add_co_ci_u32_e32 v1, vcc_lo, s2, v1, vcc_lo
	global_load_b128 v[2:5], v[0:1], off
	s_waitcnt vmcnt(0)
	v_mul_f64 v[0:1], s[26:27], v[4:5]
	v_mul_f64 v[4:5], s[24:25], v[4:5]
	s_delay_alu instid0(VALU_DEP_2) | instskip(NEXT) | instid1(VALU_DEP_2)
	v_fma_f64 v[0:1], s[24:25], v[2:3], -v[0:1]
	v_fma_f64 v[2:3], s[26:27], v[2:3], v[4:5]
.LBB6_48:
	s_mov_b32 s3, exec_lo
.LBB6_49:
	s_or_b32 exec_lo, exec_lo, s0
	s_delay_alu instid0(SALU_CYCLE_1)
	s_and_b32 vcc_lo, exec_lo, s4
	s_cbranch_vccnz .LBB6_51
	s_branch .LBB6_56
.LBB6_50:
	s_mov_b32 s3, 0
                                        ; implicit-def: $vgpr2_vgpr3
                                        ; implicit-def: $vgpr8_vgpr9
	s_cbranch_execz .LBB6_56
.LBB6_51:
	v_lshlrev_b32_e32 v13, 4, v21
	s_mov_b32 s0, exec_lo
	ds_load_b128 v[0:3], v13
	ds_load_b128 v[4:7], v13 offset:1024
	s_waitcnt lgkmcnt(0)
	v_add_f64 v[8:9], v[0:1], v[4:5]
	v_add_f64 v[11:12], v[2:3], v[6:7]
	ds_load_b128 v[0:3], v13 offset:2048
	ds_load_b128 v[4:7], v13 offset:3072
	s_waitcnt lgkmcnt(1)
	v_add_f64 v[0:1], v[8:9], v[0:1]
	v_add_f64 v[2:3], v[11:12], v[2:3]
	s_waitcnt lgkmcnt(0)
	s_delay_alu instid0(VALU_DEP_2) | instskip(NEXT) | instid1(VALU_DEP_2)
	v_add_f64 v[8:9], v[0:1], v[4:5]
	v_add_f64 v[11:12], v[2:3], v[6:7]
	ds_load_b128 v[0:3], v13 offset:4096
	ds_load_b128 v[4:7], v13 offset:5120
	s_waitcnt lgkmcnt(1)
	v_add_f64 v[0:1], v[8:9], v[0:1]
	v_add_f64 v[2:3], v[11:12], v[2:3]
	s_waitcnt lgkmcnt(0)
	s_delay_alu instid0(VALU_DEP_2) | instskip(NEXT) | instid1(VALU_DEP_2)
	;; [unrolled: 9-line block ×6, first 2 shown]
	v_add_f64 v[8:9], v[0:1], v[4:5]
	v_add_f64 v[11:12], v[2:3], v[6:7]
	ds_load_b128 v[0:3], v13 offset:14336
	ds_load_b128 v[4:7], v13 offset:15360
	s_waitcnt lgkmcnt(1)
	v_add_f64 v[0:1], v[8:9], v[0:1]
	v_add_f64 v[2:3], v[11:12], v[2:3]
                                        ; implicit-def: $vgpr8_vgpr9
	s_waitcnt lgkmcnt(0)
	s_delay_alu instid0(VALU_DEP_2) | instskip(NEXT) | instid1(VALU_DEP_2)
	v_add_f64 v[4:5], v[0:1], v[4:5]
	v_add_f64 v[6:7], v[2:3], v[6:7]
                                        ; implicit-def: $vgpr2_vgpr3
	ds_store_b128 v13, v[4:7]
	v_cmpx_gt_i32_e64 s5, v10
	s_cbranch_execz .LBB6_55
; %bb.52:
	v_mul_f64 v[0:1], s[30:31], v[6:7]
	v_mul_f64 v[2:3], s[28:29], v[6:7]
	v_cmp_neq_f64_e64 s4, s[24:25], 0
	v_cmp_neq_f64_e64 s5, s[26:27], 0
	v_mad_u64_u32 v[8:9], null, v10, s10, 0
	v_fma_f64 v[0:1], s[28:29], v[4:5], -v[0:1]
	v_fma_f64 v[2:3], s[30:31], v[4:5], v[2:3]
	v_ashrrev_i32_e32 v4, 31, v10
	v_mul_lo_u32 v5, v10, s11
	s_or_b32 s4, s4, s5
	s_delay_alu instid0(SALU_CYCLE_1) | instskip(NEXT) | instid1(VALU_DEP_2)
	s_and_not1_b32 vcc_lo, exec_lo, s4
	v_mul_lo_u32 v4, v4, s10
	s_delay_alu instid0(VALU_DEP_1)
	v_add3_u32 v9, v9, v5, v4
	s_cbranch_vccnz .LBB6_54
; %bb.53:
	s_delay_alu instid0(VALU_DEP_1) | instskip(NEXT) | instid1(VALU_DEP_1)
	v_lshlrev_b64 v[4:5], 4, v[8:9]
	v_add_co_u32 v4, vcc_lo, s1, v4
	s_delay_alu instid0(VALU_DEP_2) | instskip(SKIP_4) | instid1(VALU_DEP_2)
	v_add_co_ci_u32_e32 v5, vcc_lo, s2, v5, vcc_lo
	global_load_b128 v[4:7], v[4:5], off
	s_waitcnt vmcnt(0)
	v_mul_f64 v[10:11], s[26:27], v[6:7]
	v_mul_f64 v[6:7], s[24:25], v[6:7]
	v_fma_f64 v[10:11], s[24:25], v[4:5], -v[10:11]
	s_delay_alu instid0(VALU_DEP_2) | instskip(NEXT) | instid1(VALU_DEP_2)
	v_fma_f64 v[4:5], s[26:27], v[4:5], v[6:7]
	v_add_f64 v[0:1], v[0:1], v[10:11]
	s_delay_alu instid0(VALU_DEP_2)
	v_add_f64 v[2:3], v[2:3], v[4:5]
.LBB6_54:
	s_or_b32 s3, s3, exec_lo
.LBB6_55:
	s_or_b32 exec_lo, exec_lo, s0
.LBB6_56:
	s_delay_alu instid0(SALU_CYCLE_1)
	s_and_b32 exec_lo, exec_lo, s3
	s_cbranch_execz .LBB6_58
; %bb.57:
	v_lshlrev_b64 v[4:5], 4, v[8:9]
	s_delay_alu instid0(VALU_DEP_1) | instskip(NEXT) | instid1(VALU_DEP_2)
	v_add_co_u32 v4, vcc_lo, s1, v4
	v_add_co_ci_u32_e32 v5, vcc_lo, s2, v5, vcc_lo
	global_store_b128 v[4:5], v[0:3], off
.LBB6_58:
	s_nop 0
	s_sendmsg sendmsg(MSG_DEALLOC_VGPRS)
	s_endpgm
	.section	.rodata,"a",@progbits
	.p2align	6, 0x0
	.amdhsa_kernel _ZL20rocblas_hbmvn_kernelILi64ELi16EPK19rocblas_complex_numIdEPKS3_PKPS1_EvbiiT1_T2_lllSA_lllS9_T3_llli
		.amdhsa_group_segment_fixed_size 16384
		.amdhsa_private_segment_fixed_size 0
		.amdhsa_kernarg_size 392
		.amdhsa_user_sgpr_count 14
		.amdhsa_user_sgpr_dispatch_ptr 0
		.amdhsa_user_sgpr_queue_ptr 0
		.amdhsa_user_sgpr_kernarg_segment_ptr 1
		.amdhsa_user_sgpr_dispatch_id 0
		.amdhsa_user_sgpr_private_segment_size 0
		.amdhsa_wavefront_size32 1
		.amdhsa_uses_dynamic_stack 0
		.amdhsa_enable_private_segment 0
		.amdhsa_system_sgpr_workgroup_id_x 1
		.amdhsa_system_sgpr_workgroup_id_y 0
		.amdhsa_system_sgpr_workgroup_id_z 1
		.amdhsa_system_sgpr_workgroup_info 0
		.amdhsa_system_vgpr_workitem_id 1
		.amdhsa_next_free_vgpr 31
		.amdhsa_next_free_sgpr 41
		.amdhsa_reserve_vcc 1
		.amdhsa_float_round_mode_32 0
		.amdhsa_float_round_mode_16_64 0
		.amdhsa_float_denorm_mode_32 3
		.amdhsa_float_denorm_mode_16_64 3
		.amdhsa_dx10_clamp 1
		.amdhsa_ieee_mode 1
		.amdhsa_fp16_overflow 0
		.amdhsa_workgroup_processor_mode 1
		.amdhsa_memory_ordered 1
		.amdhsa_forward_progress 0
		.amdhsa_shared_vgpr_count 0
		.amdhsa_exception_fp_ieee_invalid_op 0
		.amdhsa_exception_fp_denorm_src 0
		.amdhsa_exception_fp_ieee_div_zero 0
		.amdhsa_exception_fp_ieee_overflow 0
		.amdhsa_exception_fp_ieee_underflow 0
		.amdhsa_exception_fp_ieee_inexact 0
		.amdhsa_exception_int_div_zero 0
	.end_amdhsa_kernel
	.section	.text._ZL20rocblas_hbmvn_kernelILi64ELi16EPK19rocblas_complex_numIdEPKS3_PKPS1_EvbiiT1_T2_lllSA_lllS9_T3_llli,"axG",@progbits,_ZL20rocblas_hbmvn_kernelILi64ELi16EPK19rocblas_complex_numIdEPKS3_PKPS1_EvbiiT1_T2_lllSA_lllS9_T3_llli,comdat
.Lfunc_end6:
	.size	_ZL20rocblas_hbmvn_kernelILi64ELi16EPK19rocblas_complex_numIdEPKS3_PKPS1_EvbiiT1_T2_lllSA_lllS9_T3_llli, .Lfunc_end6-_ZL20rocblas_hbmvn_kernelILi64ELi16EPK19rocblas_complex_numIdEPKS3_PKPS1_EvbiiT1_T2_lllSA_lllS9_T3_llli
                                        ; -- End function
	.section	.AMDGPU.csdata,"",@progbits
; Kernel info:
; codeLenInByte = 2732
; NumSgprs: 43
; NumVgprs: 31
; ScratchSize: 0
; MemoryBound: 1
; FloatMode: 240
; IeeeMode: 1
; LDSByteSize: 16384 bytes/workgroup (compile time only)
; SGPRBlocks: 5
; VGPRBlocks: 3
; NumSGPRsForWavesPerEU: 43
; NumVGPRsForWavesPerEU: 31
; Occupancy: 16
; WaveLimiterHint : 1
; COMPUTE_PGM_RSRC2:SCRATCH_EN: 0
; COMPUTE_PGM_RSRC2:USER_SGPR: 14
; COMPUTE_PGM_RSRC2:TRAP_HANDLER: 0
; COMPUTE_PGM_RSRC2:TGID_X_EN: 1
; COMPUTE_PGM_RSRC2:TGID_Y_EN: 0
; COMPUTE_PGM_RSRC2:TGID_Z_EN: 1
; COMPUTE_PGM_RSRC2:TIDIG_COMP_CNT: 1
	.section	.text._ZL20rocblas_hbmvn_kernelILi64ELi16E19rocblas_complex_numIdEPKPKS1_PKPS1_EvbiiT1_T2_lllSA_lllS9_T3_llli,"axG",@progbits,_ZL20rocblas_hbmvn_kernelILi64ELi16E19rocblas_complex_numIdEPKPKS1_PKPS1_EvbiiT1_T2_lllSA_lllS9_T3_llli,comdat
	.globl	_ZL20rocblas_hbmvn_kernelILi64ELi16E19rocblas_complex_numIdEPKPKS1_PKPS1_EvbiiT1_T2_lllSA_lllS9_T3_llli ; -- Begin function _ZL20rocblas_hbmvn_kernelILi64ELi16E19rocblas_complex_numIdEPKPKS1_PKPS1_EvbiiT1_T2_lllSA_lllS9_T3_llli
	.p2align	8
	.type	_ZL20rocblas_hbmvn_kernelILi64ELi16E19rocblas_complex_numIdEPKPKS1_PKPS1_EvbiiT1_T2_lllSA_lllS9_T3_llli,@function
_ZL20rocblas_hbmvn_kernelILi64ELi16E19rocblas_complex_numIdEPKPKS1_PKPS1_EvbiiT1_T2_lllSA_lllS9_T3_llli: ; @_ZL20rocblas_hbmvn_kernelILi64ELi16E19rocblas_complex_numIdEPKPKS1_PKPS1_EvbiiT1_T2_lllSA_lllS9_T3_llli
; %bb.0:
	s_load_b64 s[2:3], s[0:1], 0xa4
	s_waitcnt lgkmcnt(0)
	s_lshr_b32 s4, s2, 16
	s_and_b32 s33, s2, 0xffff
	s_and_b32 s2, s3, 0xffff
	s_mul_i32 s3, s4, s33
	s_delay_alu instid0(SALU_CYCLE_1) | instskip(NEXT) | instid1(SALU_CYCLE_1)
	s_mul_i32 s3, s3, s2
	s_cmpk_lg_i32 s3, 0x400
	s_cbranch_scc1 .LBB7_58
; %bb.1:
	s_clause 0x1
	s_load_b256 s[16:23], s[0:1], 0x10
	s_load_b256 s[4:11], s[0:1], 0x60
	s_mov_b32 s26, s15
	s_waitcnt lgkmcnt(0)
	v_cmp_neq_f64_e64 s2, s[16:17], 0
	v_cmp_neq_f64_e64 s3, s[18:19], 0
	s_delay_alu instid0(VALU_DEP_1)
	s_or_b32 s30, s2, s3
	s_mov_b32 s2, -1
	s_and_b32 vcc_lo, exec_lo, s30
	s_cbranch_vccnz .LBB7_3
; %bb.2:
	v_cmp_neq_f64_e64 s2, s[4:5], 1.0
	v_cmp_neq_f64_e64 s3, s[6:7], 0
	s_delay_alu instid0(VALU_DEP_1)
	s_or_b32 s2, s2, s3
.LBB7_3:
	s_delay_alu instid0(SALU_CYCLE_1)
	s_and_not1_b32 vcc_lo, exec_lo, s2
	s_cbranch_vccnz .LBB7_58
; %bb.4:
	s_clause 0x1
	s_load_b64 s[2:3], s[0:1], 0x30
	s_load_b64 s[12:13], s[0:1], 0x80
	s_xor_b32 s15, s30, -1
	s_delay_alu instid0(SALU_CYCLE_1)
	s_and_not1_b32 vcc_lo, exec_lo, s15
	s_cbranch_vccnz .LBB7_6
; %bb.5:
	s_mov_b32 s27, 0
	s_mov_b64 s[24:25], 0
	s_cbranch_execz .LBB7_7
	s_branch .LBB7_8
.LBB7_6:
	s_mov_b32 s27, -1
                                        ; implicit-def: $sgpr24_sgpr25
.LBB7_7:
	s_mov_b32 s27, 0
	s_delay_alu instid0(SALU_CYCLE_1) | instskip(NEXT) | instid1(SALU_CYCLE_1)
	s_lshl_b64 s[24:25], s[26:27], 3
	s_add_u32 s20, s20, s24
	s_addc_u32 s21, s21, s25
	s_lshl_b64 s[22:23], s[22:23], 4
	s_load_b64 s[20:21], s[20:21], 0x0
	s_waitcnt lgkmcnt(0)
	s_add_u32 s24, s20, s22
	s_addc_u32 s25, s21, s23
.LBB7_8:
	s_clause 0x1
	s_load_b128 s[20:23], s[0:1], 0x40
	s_load_b64 s[28:29], s[0:1], 0x50
	v_cndmask_b32_e64 v1, 0, 1, s30
	s_and_not1_b32 vcc_lo, exec_lo, s30
	s_mov_b64 s[30:31], 0
	s_cbranch_vccnz .LBB7_10
; %bb.9:
	s_lshl_b64 s[30:31], s[26:27], 3
	s_waitcnt lgkmcnt(0)
	s_add_u32 s20, s20, s30
	s_addc_u32 s21, s21, s31
	s_lshl_b64 s[22:23], s[22:23], 4
	s_load_b64 s[20:21], s[20:21], 0x0
	s_waitcnt lgkmcnt(0)
	s_add_u32 s30, s20, s22
	s_addc_u32 s31, s21, s23
.LBB7_10:
	s_waitcnt lgkmcnt(0)
	s_lshl_b64 s[20:21], s[26:27], 3
	v_and_b32_e32 v2, 0x3ff, v0
	s_add_u32 s8, s8, s20
	s_addc_u32 s9, s9, s21
	s_load_b128 s[20:23], s[0:1], 0x0
	s_load_b64 s[8:9], s[8:9], 0x0
	v_bfe_u32 v0, v0, 10, 10
	v_cmp_ne_u32_e32 vcc_lo, 1, v1
	s_delay_alu instid0(VALU_DEP_2)
	v_mad_u32_u24 v21, v0, s33, v2
	s_cbranch_vccnz .LBB7_43
; %bb.11:
	v_mov_b32_e32 v2, 0
	v_mov_b32_e32 v3, 0
	s_delay_alu instid0(VALU_DEP_3) | instskip(NEXT) | instid1(VALU_DEP_3)
	v_lshrrev_b32_e32 v22, 6, v21
	v_mov_b32_e32 v0, v2
	s_waitcnt lgkmcnt(0)
	s_mov_b32 s23, exec_lo
	v_mov_b32_e32 v1, v3
	v_cmpx_gt_i32_e64 s21, v22
	s_cbranch_execz .LBB7_42
; %bb.12:
	v_and_b32_e32 v10, 63, v21
	s_lshl_b32 s35, s14, 6
	s_bitcmp1_b32 s20, 0
	v_mad_u64_u32 v[0:1], null, s28, v22, 0
	s_delay_alu instid0(VALU_DEP_2)
	v_or_b32_e32 v4, s35, v10
	v_add3_u32 v2, s22, s35, v10
	s_cselect_b32 s1, -1, 0
	s_mov_b32 s33, 0
	s_and_b32 s20, s1, exec_lo
	v_ashrrev_i32_e32 v5, 31, v4
	v_mul_lo_u32 v9, v4, s3
	v_sub_nc_u32_e32 v6, v2, v22
	v_mad_u64_u32 v[2:3], null, v4, s2, 0
	s_delay_alu instid0(VALU_DEP_4)
	v_mul_lo_u32 v11, v5, s2
	v_sub_nc_u32_e32 v7, v4, v22
	s_cselect_b32 s38, s22, 0
	s_xor_b32 s20, s1, -1
	s_cmp_eq_u32 s22, 0
	v_lshlrev_b64 v[13:14], 4, v[4:5]
	s_cselect_b32 s26, -1, 0
	s_lshl_b64 s[36:37], s[2:3], 4
	v_add3_u32 v3, v3, v9, v11
	v_mad_u64_u32 v[11:12], null, s2, v22, 0
	v_cndmask_b32_e64 v23, v7, v6, s1
	v_mad_u64_u32 v[7:8], null, s29, v22, v[1:2]
	s_or_b32 s34, s26, s20
	s_lshl_b64 s[26:27], s[28:29], 8
	s_lshl_b64 s[28:29], s[2:3], 8
	s_add_u32 s2, s36, -16
	v_lshlrev_b64 v[2:3], 4, v[2:3]
	v_mad_u64_u32 v[8:9], null, v22, s2, v[13:14]
	s_delay_alu instid0(VALU_DEP_3)
	v_mov_b32_e32 v1, v7
	v_mov_b32_e32 v5, v12
	s_addc_u32 s2, s37, -1
	v_sub_nc_u32_e32 v7, s38, v10
	v_cmp_gt_i32_e64 s0, s21, v4
	v_lshlrev_b64 v[0:1], 4, v[0:1]
	v_mad_u64_u32 v[12:13], null, s3, v22, v[5:6]
	v_add_co_u32 v5, vcc_lo, s24, v2
	v_mov_b32_e32 v2, v9
	v_add_co_ci_u32_e32 v24, vcc_lo, s25, v3, vcc_lo
	v_add_co_u32 v9, vcc_lo, s30, v0
	s_delay_alu instid0(VALU_DEP_3)
	v_mad_u64_u32 v[13:14], null, v22, s2, v[2:3]
	v_mov_b32_e32 v2, 0
	v_mov_b32_e32 v3, 0
	v_add_co_ci_u32_e32 v10, vcc_lo, s31, v1, vcc_lo
	v_lshlrev_b64 v[11:12], 4, v[11:12]
	v_subrev_nc_u32_e32 v25, s35, v7
	v_mov_b32_e32 v26, v13
	v_mov_b32_e32 v0, v2
	v_dual_mov_b32 v14, 0 :: v_dual_mov_b32 v1, v3
	s_add_u32 s3, s28, 0xffffff00
	s_addc_u32 s35, s29, -1
	s_mov_b64 s[30:31], 0
	s_branch .LBB7_16
.LBB7_13:                               ;   in Loop: Header=BB7_16 Depth=1
	s_or_b32 exec_lo, exec_lo, s2
.LBB7_14:                               ;   in Loop: Header=BB7_16 Depth=1
	s_delay_alu instid0(SALU_CYCLE_1)
	s_or_b32 exec_lo, exec_lo, s37
.LBB7_15:                               ;   in Loop: Header=BB7_16 Depth=1
	s_delay_alu instid0(SALU_CYCLE_1)
	s_or_b32 exec_lo, exec_lo, s36
	v_add_co_u32 v9, vcc_lo, v9, s26
	v_add_nc_u32_e32 v22, 16, v22
	v_add_co_ci_u32_e32 v10, vcc_lo, s27, v10, vcc_lo
	v_add_co_u32 v11, vcc_lo, v11, s28
	v_add_co_ci_u32_e32 v12, vcc_lo, s29, v12, vcc_lo
	s_delay_alu instid0(VALU_DEP_4)
	v_cmp_le_i32_e32 vcc_lo, s21, v22
	v_add_co_u32 v8, s2, v8, s3
	v_add_nc_u32_e32 v6, -16, v6
	v_add_co_ci_u32_e64 v26, s2, s35, v26, s2
	s_add_u32 s30, s30, -16
	s_addc_u32 s31, s31, -1
	s_or_b32 s33, vcc_lo, s33
	s_delay_alu instid0(SALU_CYCLE_1)
	s_and_not1_b32 exec_lo, exec_lo, s33
	s_cbranch_execz .LBB7_41
.LBB7_16:                               ; =>This Inner Loop Header: Depth=1
	s_and_saveexec_b32 s36, s0
	s_cbranch_execz .LBB7_15
; %bb.17:                               ;   in Loop: Header=BB7_16 Depth=1
	v_cmp_lt_i32_e32 vcc_lo, v22, v4
	v_cmp_gt_i32_e64 s2, v22, v4
	s_or_b32 s37, vcc_lo, s20
	s_delay_alu instid0(VALU_DEP_1) | instskip(NEXT) | instid1(SALU_CYCLE_1)
	s_or_b32 s2, s2, s1
	s_and_b32 s2, s37, s2
	s_delay_alu instid0(SALU_CYCLE_1) | instskip(NEXT) | instid1(SALU_CYCLE_1)
	s_xor_b32 s2, s2, -1
	s_and_saveexec_b32 s37, s2
	s_delay_alu instid0(SALU_CYCLE_1)
	s_xor_b32 s37, exec_lo, s37
	s_cbranch_execz .LBB7_38
; %bb.18:                               ;   in Loop: Header=BB7_16 Depth=1
	v_add_nc_u32_e32 v13, s30, v23
	s_delay_alu instid0(VALU_DEP_1) | instskip(SKIP_1) | instid1(VALU_DEP_1)
	v_cmp_le_i32_e32 vcc_lo, s22, v13
	v_cmp_gt_i32_e64 s2, 1, v13
	s_or_b32 s2, vcc_lo, s2
	s_delay_alu instid0(SALU_CYCLE_1) | instskip(NEXT) | instid1(SALU_CYCLE_1)
	s_and_saveexec_b32 s38, s2
	s_xor_b32 s2, exec_lo, s38
	s_cbranch_execz .LBB7_35
; %bb.19:                               ;   in Loop: Header=BB7_16 Depth=1
	s_mov_b32 s38, exec_lo
	v_cmpx_ne_u32_e32 0, v13
	s_xor_b32 s38, exec_lo, s38
	s_cbranch_execz .LBB7_28
; %bb.20:                               ;   in Loop: Header=BB7_16 Depth=1
	s_mov_b32 s39, exec_lo
	v_cmpx_eq_u32_e64 s22, v13
	s_cbranch_execz .LBB7_27
; %bb.21:                               ;   in Loop: Header=BB7_16 Depth=1
	s_and_b32 vcc_lo, exec_lo, s20
	s_cbranch_vccz .LBB7_23
; %bb.22:                               ;   in Loop: Header=BB7_16 Depth=1
	v_add_co_u32 v19, vcc_lo, s24, v8
	v_add_co_ci_u32_e32 v20, vcc_lo, s25, v26, vcc_lo
	s_mov_b32 s40, 0
	flat_load_b128 v[15:18], v[9:10]
	flat_load_b128 v[27:30], v[19:20]
	s_waitcnt vmcnt(0) lgkmcnt(0)
	v_mul_f64 v[19:20], v[17:18], v[29:30]
	v_mul_f64 v[29:30], v[15:16], v[29:30]
	s_delay_alu instid0(VALU_DEP_2) | instskip(NEXT) | instid1(VALU_DEP_2)
	v_fma_f64 v[15:16], v[15:16], v[27:28], -v[19:20]
	v_fma_f64 v[17:18], v[17:18], v[27:28], v[29:30]
	s_delay_alu instid0(VALU_DEP_2) | instskip(NEXT) | instid1(VALU_DEP_2)
	v_add_f64 v[15:16], v[0:1], v[15:16]
	v_add_f64 v[17:18], v[2:3], v[17:18]
	s_branch .LBB7_24
.LBB7_23:                               ;   in Loop: Header=BB7_16 Depth=1
	s_mov_b32 s40, -1
                                        ; implicit-def: $vgpr17_vgpr18
                                        ; implicit-def: $vgpr15_vgpr16
.LBB7_24:                               ;   in Loop: Header=BB7_16 Depth=1
	s_delay_alu instid0(SALU_CYCLE_1)
	s_and_not1_b32 vcc_lo, exec_lo, s40
	s_cbranch_vccnz .LBB7_26
; %bb.25:                               ;   in Loop: Header=BB7_16 Depth=1
	v_ashrrev_i32_e32 v7, 31, v6
	s_delay_alu instid0(VALU_DEP_1) | instskip(NEXT) | instid1(VALU_DEP_1)
	v_lshlrev_b64 v[15:16], 4, v[6:7]
	v_add_co_u32 v7, vcc_lo, v11, v15
	s_delay_alu instid0(VALU_DEP_2) | instskip(NEXT) | instid1(VALU_DEP_2)
	v_add_co_ci_u32_e32 v13, vcc_lo, v12, v16, vcc_lo
	v_add_co_u32 v19, vcc_lo, s24, v7
	s_delay_alu instid0(VALU_DEP_2)
	v_add_co_ci_u32_e32 v20, vcc_lo, s25, v13, vcc_lo
	flat_load_b128 v[15:18], v[9:10]
	flat_load_b64 v[19:20], v[19:20]
	s_waitcnt vmcnt(0) lgkmcnt(0)
	v_fma_f64 v[15:16], v[19:20], v[15:16], v[0:1]
	v_fma_f64 v[17:18], v[19:20], v[17:18], v[2:3]
.LBB7_26:                               ;   in Loop: Header=BB7_16 Depth=1
	s_delay_alu instid0(VALU_DEP_1) | instskip(NEXT) | instid1(VALU_DEP_3)
	v_dual_mov_b32 v2, v17 :: v_dual_mov_b32 v3, v18
	v_dual_mov_b32 v0, v15 :: v_dual_mov_b32 v1, v16
.LBB7_27:                               ;   in Loop: Header=BB7_16 Depth=1
	s_or_b32 exec_lo, exec_lo, s39
.LBB7_28:                               ;   in Loop: Header=BB7_16 Depth=1
	s_and_not1_saveexec_b32 s38, s38
	s_cbranch_execz .LBB7_34
; %bb.29:                               ;   in Loop: Header=BB7_16 Depth=1
	v_add_co_u32 v15, vcc_lo, s24, v11
	v_add_co_ci_u32_e32 v16, vcc_lo, s25, v12, vcc_lo
	s_and_not1_b32 vcc_lo, exec_lo, s34
	s_cbranch_vccnz .LBB7_31
; %bb.30:                               ;   in Loop: Header=BB7_16 Depth=1
	flat_load_b64 v[27:28], v[15:16]
	flat_load_b128 v[17:20], v[9:10]
	s_waitcnt vmcnt(0) lgkmcnt(0)
	v_fma_f64 v[17:18], v[27:28], v[17:18], v[0:1]
	v_fma_f64 v[19:20], v[27:28], v[19:20], v[2:3]
	s_cbranch_execz .LBB7_32
	s_branch .LBB7_33
.LBB7_31:                               ;   in Loop: Header=BB7_16 Depth=1
                                        ; implicit-def: $vgpr19_vgpr20
                                        ; implicit-def: $vgpr17_vgpr18
.LBB7_32:                               ;   in Loop: Header=BB7_16 Depth=1
	flat_load_b128 v[17:20], v[9:10]
	flat_load_b128 v[27:30], v[15:16]
	s_waitcnt vmcnt(0) lgkmcnt(0)
	v_mul_f64 v[15:16], v[19:20], v[29:30]
	v_mul_f64 v[29:30], v[17:18], v[29:30]
	s_delay_alu instid0(VALU_DEP_2) | instskip(NEXT) | instid1(VALU_DEP_2)
	v_fma_f64 v[15:16], v[17:18], v[27:28], -v[15:16]
	v_fma_f64 v[19:20], v[19:20], v[27:28], v[29:30]
	s_delay_alu instid0(VALU_DEP_2) | instskip(NEXT) | instid1(VALU_DEP_2)
	v_add_f64 v[17:18], v[0:1], v[15:16]
	v_add_f64 v[19:20], v[2:3], v[19:20]
.LBB7_33:                               ;   in Loop: Header=BB7_16 Depth=1
	s_delay_alu instid0(VALU_DEP_1) | instskip(NEXT) | instid1(VALU_DEP_3)
	v_dual_mov_b32 v2, v19 :: v_dual_mov_b32 v3, v20
	v_dual_mov_b32 v0, v17 :: v_dual_mov_b32 v1, v18
.LBB7_34:                               ;   in Loop: Header=BB7_16 Depth=1
	s_or_b32 exec_lo, exec_lo, s38
.LBB7_35:                               ;   in Loop: Header=BB7_16 Depth=1
	s_and_not1_saveexec_b32 s2, s2
	s_cbranch_execz .LBB7_37
; %bb.36:                               ;   in Loop: Header=BB7_16 Depth=1
	v_lshlrev_b64 v[15:16], 4, v[13:14]
	s_delay_alu instid0(VALU_DEP_1) | instskip(NEXT) | instid1(VALU_DEP_2)
	v_add_co_u32 v7, vcc_lo, v11, v15
	v_add_co_ci_u32_e32 v13, vcc_lo, v12, v16, vcc_lo
	s_delay_alu instid0(VALU_DEP_2) | instskip(NEXT) | instid1(VALU_DEP_2)
	v_add_co_u32 v19, vcc_lo, s24, v7
	v_add_co_ci_u32_e32 v20, vcc_lo, s25, v13, vcc_lo
	flat_load_b128 v[15:18], v[9:10]
	flat_load_b128 v[27:30], v[19:20]
	s_waitcnt vmcnt(0) lgkmcnt(0)
	v_mul_f64 v[19:20], v[17:18], v[29:30]
	v_mul_f64 v[29:30], v[15:16], v[29:30]
	s_delay_alu instid0(VALU_DEP_2) | instskip(NEXT) | instid1(VALU_DEP_2)
	v_fma_f64 v[15:16], v[15:16], v[27:28], -v[19:20]
	v_fma_f64 v[17:18], v[17:18], v[27:28], v[29:30]
	s_delay_alu instid0(VALU_DEP_2) | instskip(NEXT) | instid1(VALU_DEP_2)
	v_add_f64 v[0:1], v[0:1], v[15:16]
	v_add_f64 v[2:3], v[2:3], v[17:18]
.LBB7_37:                               ;   in Loop: Header=BB7_16 Depth=1
	s_or_b32 exec_lo, exec_lo, s2
.LBB7_38:                               ;   in Loop: Header=BB7_16 Depth=1
	s_and_not1_saveexec_b32 s37, s37
	s_cbranch_execz .LBB7_14
; %bb.39:                               ;   in Loop: Header=BB7_16 Depth=1
	v_add_nc_u32_e32 v13, v25, v22
	s_delay_alu instid0(VALU_DEP_1) | instskip(SKIP_1) | instid1(VALU_DEP_1)
	v_cmp_ge_i32_e32 vcc_lo, s22, v13
	v_cmp_lt_i32_e64 s2, -1, v13
	s_and_b32 s38, vcc_lo, s2
	s_delay_alu instid0(SALU_CYCLE_1)
	s_and_saveexec_b32 s2, s38
	s_cbranch_execz .LBB7_13
; %bb.40:                               ;   in Loop: Header=BB7_16 Depth=1
	v_lshlrev_b64 v[15:16], 4, v[13:14]
	s_delay_alu instid0(VALU_DEP_1) | instskip(NEXT) | instid1(VALU_DEP_2)
	v_add_co_u32 v19, vcc_lo, v5, v15
	v_add_co_ci_u32_e32 v20, vcc_lo, v24, v16, vcc_lo
	flat_load_b128 v[15:18], v[9:10]
	flat_load_b128 v[27:30], v[19:20]
	s_waitcnt vmcnt(0) lgkmcnt(0)
	v_mul_f64 v[19:20], v[29:30], v[17:18]
	v_mul_f64 v[29:30], v[29:30], v[15:16]
	s_delay_alu instid0(VALU_DEP_2) | instskip(NEXT) | instid1(VALU_DEP_2)
	v_fma_f64 v[15:16], v[27:28], v[15:16], v[19:20]
	v_fma_f64 v[17:18], v[27:28], v[17:18], -v[29:30]
	s_delay_alu instid0(VALU_DEP_2) | instskip(NEXT) | instid1(VALU_DEP_2)
	v_add_f64 v[0:1], v[0:1], v[15:16]
	v_add_f64 v[2:3], v[2:3], v[17:18]
	s_branch .LBB7_13
.LBB7_41:
	s_or_b32 exec_lo, exec_lo, s33
.LBB7_42:
	s_delay_alu instid0(SALU_CYCLE_1)
	s_or_b32 exec_lo, exec_lo, s23
	v_lshlrev_b32_e32 v4, 4, v21
	ds_store_b128 v4, v[0:3]
	s_waitcnt lgkmcnt(0)
	s_barrier
	buffer_gl0_inv
.LBB7_43:
	s_mov_b32 s0, exec_lo
	s_delay_alu instid0(VALU_DEP_1)
	v_cmpx_gt_u32_e32 64, v21
	s_cbranch_execz .LBB7_58
; %bb.44:
	v_lshl_or_b32 v10, s14, 6, v21
	s_lshl_b64 s[2:3], s[10:11], 4
	s_waitcnt lgkmcnt(0)
	s_add_u32 s1, s8, s2
	s_addc_u32 s2, s9, s3
	v_cmp_gt_i32_e64 s0, s21, v10
	s_and_b32 vcc_lo, exec_lo, s15
	s_cbranch_vccz .LBB7_50
; %bb.45:
	s_mov_b32 s8, 0
	s_mov_b32 s3, 0
                                        ; implicit-def: $vgpr2_vgpr3
                                        ; implicit-def: $vgpr8_vgpr9
	s_and_saveexec_b32 s9, s0
	s_delay_alu instid0(SALU_CYCLE_1)
	s_xor_b32 s0, exec_lo, s9
	s_cbranch_execz .LBB7_49
; %bb.46:
	v_cmp_neq_f64_e64 s3, s[4:5], 0
	v_cmp_neq_f64_e64 s9, s[6:7], 0
	v_ashrrev_i32_e32 v0, 31, v10
	v_mul_lo_u32 v1, v10, s13
	v_mad_u64_u32 v[8:9], null, v10, s12, 0
	v_mov_b32_e32 v2, 0
	s_delay_alu instid0(VALU_DEP_4) | instskip(SKIP_1) | instid1(VALU_DEP_2)
	v_mul_lo_u32 v0, v0, s12
	v_mov_b32_e32 v3, 0
	v_add3_u32 v9, v9, v1, v0
	s_delay_alu instid0(VALU_DEP_2) | instskip(SKIP_1) | instid1(SALU_CYCLE_1)
	v_dual_mov_b32 v0, v2 :: v_dual_mov_b32 v1, v3
	s_or_b32 s3, s3, s9
	s_and_not1_b32 vcc_lo, exec_lo, s3
	s_cbranch_vccnz .LBB7_48
; %bb.47:
	v_lshlrev_b64 v[0:1], 4, v[8:9]
	s_delay_alu instid0(VALU_DEP_1) | instskip(NEXT) | instid1(VALU_DEP_2)
	v_add_co_u32 v0, vcc_lo, s1, v0
	v_add_co_ci_u32_e32 v1, vcc_lo, s2, v1, vcc_lo
	global_load_b128 v[2:5], v[0:1], off
	s_waitcnt vmcnt(0)
	v_mul_f64 v[0:1], s[6:7], v[4:5]
	v_mul_f64 v[4:5], s[4:5], v[4:5]
	s_delay_alu instid0(VALU_DEP_2) | instskip(NEXT) | instid1(VALU_DEP_2)
	v_fma_f64 v[0:1], s[4:5], v[2:3], -v[0:1]
	v_fma_f64 v[2:3], s[6:7], v[2:3], v[4:5]
.LBB7_48:
	s_mov_b32 s3, exec_lo
.LBB7_49:
	s_or_b32 exec_lo, exec_lo, s0
	s_delay_alu instid0(SALU_CYCLE_1)
	s_and_b32 vcc_lo, exec_lo, s8
	s_cbranch_vccnz .LBB7_51
	s_branch .LBB7_56
.LBB7_50:
	s_mov_b32 s3, 0
                                        ; implicit-def: $vgpr2_vgpr3
                                        ; implicit-def: $vgpr8_vgpr9
	s_cbranch_execz .LBB7_56
.LBB7_51:
	v_lshlrev_b32_e32 v13, 4, v21
	s_mov_b32 s0, exec_lo
	ds_load_b128 v[0:3], v13
	ds_load_b128 v[4:7], v13 offset:1024
	s_waitcnt lgkmcnt(0)
	v_add_f64 v[8:9], v[0:1], v[4:5]
	v_add_f64 v[11:12], v[2:3], v[6:7]
	ds_load_b128 v[0:3], v13 offset:2048
	ds_load_b128 v[4:7], v13 offset:3072
	s_waitcnt lgkmcnt(1)
	v_add_f64 v[0:1], v[8:9], v[0:1]
	v_add_f64 v[2:3], v[11:12], v[2:3]
	s_waitcnt lgkmcnt(0)
	s_delay_alu instid0(VALU_DEP_2) | instskip(NEXT) | instid1(VALU_DEP_2)
	v_add_f64 v[8:9], v[0:1], v[4:5]
	v_add_f64 v[11:12], v[2:3], v[6:7]
	ds_load_b128 v[0:3], v13 offset:4096
	ds_load_b128 v[4:7], v13 offset:5120
	s_waitcnt lgkmcnt(1)
	v_add_f64 v[0:1], v[8:9], v[0:1]
	v_add_f64 v[2:3], v[11:12], v[2:3]
	s_waitcnt lgkmcnt(0)
	s_delay_alu instid0(VALU_DEP_2) | instskip(NEXT) | instid1(VALU_DEP_2)
	;; [unrolled: 9-line block ×6, first 2 shown]
	v_add_f64 v[8:9], v[0:1], v[4:5]
	v_add_f64 v[11:12], v[2:3], v[6:7]
	ds_load_b128 v[0:3], v13 offset:14336
	ds_load_b128 v[4:7], v13 offset:15360
	s_waitcnt lgkmcnt(1)
	v_add_f64 v[0:1], v[8:9], v[0:1]
	v_add_f64 v[2:3], v[11:12], v[2:3]
                                        ; implicit-def: $vgpr8_vgpr9
	s_waitcnt lgkmcnt(0)
	s_delay_alu instid0(VALU_DEP_2) | instskip(NEXT) | instid1(VALU_DEP_2)
	v_add_f64 v[4:5], v[0:1], v[4:5]
	v_add_f64 v[6:7], v[2:3], v[6:7]
                                        ; implicit-def: $vgpr2_vgpr3
	ds_store_b128 v13, v[4:7]
	v_cmpx_gt_i32_e64 s21, v10
	s_cbranch_execz .LBB7_55
; %bb.52:
	v_mul_f64 v[0:1], s[18:19], v[6:7]
	v_mul_f64 v[2:3], s[16:17], v[6:7]
	v_cmp_neq_f64_e64 s8, s[4:5], 0
	v_cmp_neq_f64_e64 s9, s[6:7], 0
	v_mad_u64_u32 v[8:9], null, v10, s12, 0
	v_fma_f64 v[0:1], s[16:17], v[4:5], -v[0:1]
	v_fma_f64 v[2:3], s[18:19], v[4:5], v[2:3]
	v_ashrrev_i32_e32 v4, 31, v10
	v_mul_lo_u32 v5, v10, s13
	s_or_b32 s8, s8, s9
	s_delay_alu instid0(SALU_CYCLE_1) | instskip(NEXT) | instid1(VALU_DEP_2)
	s_and_not1_b32 vcc_lo, exec_lo, s8
	v_mul_lo_u32 v4, v4, s12
	s_delay_alu instid0(VALU_DEP_1)
	v_add3_u32 v9, v9, v5, v4
	s_cbranch_vccnz .LBB7_54
; %bb.53:
	s_delay_alu instid0(VALU_DEP_1) | instskip(NEXT) | instid1(VALU_DEP_1)
	v_lshlrev_b64 v[4:5], 4, v[8:9]
	v_add_co_u32 v4, vcc_lo, s1, v4
	s_delay_alu instid0(VALU_DEP_2) | instskip(SKIP_4) | instid1(VALU_DEP_2)
	v_add_co_ci_u32_e32 v5, vcc_lo, s2, v5, vcc_lo
	global_load_b128 v[4:7], v[4:5], off
	s_waitcnt vmcnt(0)
	v_mul_f64 v[10:11], s[6:7], v[6:7]
	v_mul_f64 v[6:7], s[4:5], v[6:7]
	v_fma_f64 v[10:11], s[4:5], v[4:5], -v[10:11]
	s_delay_alu instid0(VALU_DEP_2) | instskip(NEXT) | instid1(VALU_DEP_2)
	v_fma_f64 v[4:5], s[6:7], v[4:5], v[6:7]
	v_add_f64 v[0:1], v[0:1], v[10:11]
	s_delay_alu instid0(VALU_DEP_2)
	v_add_f64 v[2:3], v[2:3], v[4:5]
.LBB7_54:
	s_or_b32 s3, s3, exec_lo
.LBB7_55:
	s_or_b32 exec_lo, exec_lo, s0
.LBB7_56:
	s_delay_alu instid0(SALU_CYCLE_1)
	s_and_b32 exec_lo, exec_lo, s3
	s_cbranch_execz .LBB7_58
; %bb.57:
	v_lshlrev_b64 v[4:5], 4, v[8:9]
	s_delay_alu instid0(VALU_DEP_1) | instskip(NEXT) | instid1(VALU_DEP_2)
	v_add_co_u32 v4, vcc_lo, s1, v4
	v_add_co_ci_u32_e32 v5, vcc_lo, s2, v5, vcc_lo
	global_store_b128 v[4:5], v[0:3], off
.LBB7_58:
	s_nop 0
	s_sendmsg sendmsg(MSG_DEALLOC_VGPRS)
	s_endpgm
	.section	.rodata,"a",@progbits
	.p2align	6, 0x0
	.amdhsa_kernel _ZL20rocblas_hbmvn_kernelILi64ELi16E19rocblas_complex_numIdEPKPKS1_PKPS1_EvbiiT1_T2_lllSA_lllS9_T3_llli
		.amdhsa_group_segment_fixed_size 16384
		.amdhsa_private_segment_fixed_size 0
		.amdhsa_kernarg_size 408
		.amdhsa_user_sgpr_count 14
		.amdhsa_user_sgpr_dispatch_ptr 0
		.amdhsa_user_sgpr_queue_ptr 0
		.amdhsa_user_sgpr_kernarg_segment_ptr 1
		.amdhsa_user_sgpr_dispatch_id 0
		.amdhsa_user_sgpr_private_segment_size 0
		.amdhsa_wavefront_size32 1
		.amdhsa_uses_dynamic_stack 0
		.amdhsa_enable_private_segment 0
		.amdhsa_system_sgpr_workgroup_id_x 1
		.amdhsa_system_sgpr_workgroup_id_y 0
		.amdhsa_system_sgpr_workgroup_id_z 1
		.amdhsa_system_sgpr_workgroup_info 0
		.amdhsa_system_vgpr_workitem_id 1
		.amdhsa_next_free_vgpr 31
		.amdhsa_next_free_sgpr 41
		.amdhsa_reserve_vcc 1
		.amdhsa_float_round_mode_32 0
		.amdhsa_float_round_mode_16_64 0
		.amdhsa_float_denorm_mode_32 3
		.amdhsa_float_denorm_mode_16_64 3
		.amdhsa_dx10_clamp 1
		.amdhsa_ieee_mode 1
		.amdhsa_fp16_overflow 0
		.amdhsa_workgroup_processor_mode 1
		.amdhsa_memory_ordered 1
		.amdhsa_forward_progress 0
		.amdhsa_shared_vgpr_count 0
		.amdhsa_exception_fp_ieee_invalid_op 0
		.amdhsa_exception_fp_denorm_src 0
		.amdhsa_exception_fp_ieee_div_zero 0
		.amdhsa_exception_fp_ieee_overflow 0
		.amdhsa_exception_fp_ieee_underflow 0
		.amdhsa_exception_fp_ieee_inexact 0
		.amdhsa_exception_int_div_zero 0
	.end_amdhsa_kernel
	.section	.text._ZL20rocblas_hbmvn_kernelILi64ELi16E19rocblas_complex_numIdEPKPKS1_PKPS1_EvbiiT1_T2_lllSA_lllS9_T3_llli,"axG",@progbits,_ZL20rocblas_hbmvn_kernelILi64ELi16E19rocblas_complex_numIdEPKPKS1_PKPS1_EvbiiT1_T2_lllSA_lllS9_T3_llli,comdat
.Lfunc_end7:
	.size	_ZL20rocblas_hbmvn_kernelILi64ELi16E19rocblas_complex_numIdEPKPKS1_PKPS1_EvbiiT1_T2_lllSA_lllS9_T3_llli, .Lfunc_end7-_ZL20rocblas_hbmvn_kernelILi64ELi16E19rocblas_complex_numIdEPKPKS1_PKPS1_EvbiiT1_T2_lllSA_lllS9_T3_llli
                                        ; -- End function
	.section	.AMDGPU.csdata,"",@progbits
; Kernel info:
; codeLenInByte = 2732
; NumSgprs: 43
; NumVgprs: 31
; ScratchSize: 0
; MemoryBound: 1
; FloatMode: 240
; IeeeMode: 1
; LDSByteSize: 16384 bytes/workgroup (compile time only)
; SGPRBlocks: 5
; VGPRBlocks: 3
; NumSGPRsForWavesPerEU: 43
; NumVGPRsForWavesPerEU: 31
; Occupancy: 16
; WaveLimiterHint : 1
; COMPUTE_PGM_RSRC2:SCRATCH_EN: 0
; COMPUTE_PGM_RSRC2:USER_SGPR: 14
; COMPUTE_PGM_RSRC2:TRAP_HANDLER: 0
; COMPUTE_PGM_RSRC2:TGID_X_EN: 1
; COMPUTE_PGM_RSRC2:TGID_Y_EN: 0
; COMPUTE_PGM_RSRC2:TGID_Z_EN: 1
; COMPUTE_PGM_RSRC2:TIDIG_COMP_CNT: 1
	.text
	.p2alignl 7, 3214868480
	.fill 96, 4, 3214868480
	.type	__hip_cuid_5e68c3e7c8b772f8,@object ; @__hip_cuid_5e68c3e7c8b772f8
	.section	.bss,"aw",@nobits
	.globl	__hip_cuid_5e68c3e7c8b772f8
__hip_cuid_5e68c3e7c8b772f8:
	.byte	0                               ; 0x0
	.size	__hip_cuid_5e68c3e7c8b772f8, 1

	.ident	"AMD clang version 19.0.0git (https://github.com/RadeonOpenCompute/llvm-project roc-6.4.0 25133 c7fe45cf4b819c5991fe208aaa96edf142730f1d)"
	.section	".note.GNU-stack","",@progbits
	.addrsig
	.addrsig_sym __hip_cuid_5e68c3e7c8b772f8
	.amdgpu_metadata
---
amdhsa.kernels:
  - .args:
      - .offset:         0
        .size:           1
        .value_kind:     by_value
      - .offset:         4
        .size:           4
        .value_kind:     by_value
      - .offset:         8
        .size:           4
        .value_kind:     by_value
      - .address_space:  global
        .offset:         16
        .size:           8
        .value_kind:     global_buffer
      - .address_space:  global
        .offset:         24
        .size:           8
        .value_kind:     global_buffer
      - .offset:         32
        .size:           8
        .value_kind:     by_value
      - .offset:         40
        .size:           8
        .value_kind:     by_value
      - .offset:         48
        .size:           8
        .value_kind:     by_value
      - .address_space:  global
        .offset:         56
        .size:           8
        .value_kind:     global_buffer
      - .offset:         64
        .size:           8
        .value_kind:     by_value
      - .offset:         72
        .size:           8
        .value_kind:     by_value
      - .offset:         80
        .size:           8
        .value_kind:     by_value
      - .address_space:  global
        .offset:         88
        .size:           8
        .value_kind:     global_buffer
      - .address_space:  global
        .offset:         96
        .size:           8
        .value_kind:     global_buffer
      - .offset:         104
        .size:           8
        .value_kind:     by_value
      - .offset:         112
        .size:           8
        .value_kind:     by_value
      - .offset:         120
        .size:           8
        .value_kind:     by_value
      - .offset:         128
        .size:           4
        .value_kind:     by_value
      - .offset:         136
        .size:           4
        .value_kind:     hidden_block_count_x
      - .offset:         140
        .size:           4
        .value_kind:     hidden_block_count_y
      - .offset:         144
        .size:           4
        .value_kind:     hidden_block_count_z
      - .offset:         148
        .size:           2
        .value_kind:     hidden_group_size_x
      - .offset:         150
        .size:           2
        .value_kind:     hidden_group_size_y
      - .offset:         152
        .size:           2
        .value_kind:     hidden_group_size_z
      - .offset:         154
        .size:           2
        .value_kind:     hidden_remainder_x
      - .offset:         156
        .size:           2
        .value_kind:     hidden_remainder_y
      - .offset:         158
        .size:           2
        .value_kind:     hidden_remainder_z
      - .offset:         176
        .size:           8
        .value_kind:     hidden_global_offset_x
      - .offset:         184
        .size:           8
        .value_kind:     hidden_global_offset_y
      - .offset:         192
        .size:           8
        .value_kind:     hidden_global_offset_z
      - .offset:         200
        .size:           2
        .value_kind:     hidden_grid_dims
    .group_segment_fixed_size: 8192
    .kernarg_segment_align: 8
    .kernarg_segment_size: 392
    .language:       OpenCL C
    .language_version:
      - 2
      - 0
    .max_flat_workgroup_size: 1024
    .name:           _ZL20rocblas_hbmvn_kernelILi64ELi16EPK19rocblas_complex_numIfES3_PS1_EvbiiT1_T2_lllS6_lllS5_T3_llli
    .private_segment_fixed_size: 0
    .sgpr_count:     50
    .sgpr_spill_count: 0
    .symbol:         _ZL20rocblas_hbmvn_kernelILi64ELi16EPK19rocblas_complex_numIfES3_PS1_EvbiiT1_T2_lllS6_lllS5_T3_llli.kd
    .uniform_work_group_size: 1
    .uses_dynamic_stack: false
    .vgpr_count:     23
    .vgpr_spill_count: 0
    .wavefront_size: 32
    .workgroup_processor_mode: 1
  - .args:
      - .offset:         0
        .size:           1
        .value_kind:     by_value
      - .offset:         4
        .size:           4
        .value_kind:     by_value
      - .offset:         8
        .size:           4
        .value_kind:     by_value
      - .offset:         12
        .size:           8
        .value_kind:     by_value
      - .address_space:  global
        .offset:         24
        .size:           8
        .value_kind:     global_buffer
      - .offset:         32
        .size:           8
        .value_kind:     by_value
      - .offset:         40
        .size:           8
        .value_kind:     by_value
      - .offset:         48
        .size:           8
        .value_kind:     by_value
      - .address_space:  global
        .offset:         56
        .size:           8
        .value_kind:     global_buffer
      - .offset:         64
        .size:           8
        .value_kind:     by_value
      - .offset:         72
        .size:           8
        .value_kind:     by_value
      - .offset:         80
        .size:           8
        .value_kind:     by_value
      - .offset:         88
        .size:           8
        .value_kind:     by_value
      - .address_space:  global
        .offset:         96
        .size:           8
        .value_kind:     global_buffer
      - .offset:         104
        .size:           8
        .value_kind:     by_value
      - .offset:         112
        .size:           8
        .value_kind:     by_value
      - .offset:         120
        .size:           8
        .value_kind:     by_value
      - .offset:         128
        .size:           4
        .value_kind:     by_value
      - .offset:         136
        .size:           4
        .value_kind:     hidden_block_count_x
      - .offset:         140
        .size:           4
        .value_kind:     hidden_block_count_y
      - .offset:         144
        .size:           4
        .value_kind:     hidden_block_count_z
      - .offset:         148
        .size:           2
        .value_kind:     hidden_group_size_x
      - .offset:         150
        .size:           2
        .value_kind:     hidden_group_size_y
      - .offset:         152
        .size:           2
        .value_kind:     hidden_group_size_z
      - .offset:         154
        .size:           2
        .value_kind:     hidden_remainder_x
      - .offset:         156
        .size:           2
        .value_kind:     hidden_remainder_y
      - .offset:         158
        .size:           2
        .value_kind:     hidden_remainder_z
      - .offset:         176
        .size:           8
        .value_kind:     hidden_global_offset_x
      - .offset:         184
        .size:           8
        .value_kind:     hidden_global_offset_y
      - .offset:         192
        .size:           8
        .value_kind:     hidden_global_offset_z
      - .offset:         200
        .size:           2
        .value_kind:     hidden_grid_dims
    .group_segment_fixed_size: 8192
    .kernarg_segment_align: 8
    .kernarg_segment_size: 392
    .language:       OpenCL C
    .language_version:
      - 2
      - 0
    .max_flat_workgroup_size: 1024
    .name:           _ZL20rocblas_hbmvn_kernelILi64ELi16E19rocblas_complex_numIfEPKS1_PS1_EvbiiT1_T2_lllS6_lllS5_T3_llli
    .private_segment_fixed_size: 0
    .sgpr_count:     43
    .sgpr_spill_count: 0
    .symbol:         _ZL20rocblas_hbmvn_kernelILi64ELi16E19rocblas_complex_numIfEPKS1_PS1_EvbiiT1_T2_lllS6_lllS5_T3_llli.kd
    .uniform_work_group_size: 1
    .uses_dynamic_stack: false
    .vgpr_count:     23
    .vgpr_spill_count: 0
    .wavefront_size: 32
    .workgroup_processor_mode: 1
  - .args:
      - .offset:         0
        .size:           1
        .value_kind:     by_value
      - .offset:         4
        .size:           4
        .value_kind:     by_value
      - .offset:         8
        .size:           4
        .value_kind:     by_value
      - .address_space:  global
        .offset:         16
        .size:           8
        .value_kind:     global_buffer
      - .address_space:  global
        .offset:         24
        .size:           8
        .value_kind:     global_buffer
      - .offset:         32
        .size:           8
        .value_kind:     by_value
      - .offset:         40
        .size:           8
        .value_kind:     by_value
      - .offset:         48
        .size:           8
        .value_kind:     by_value
      - .address_space:  global
        .offset:         56
        .size:           8
        .value_kind:     global_buffer
      - .offset:         64
        .size:           8
        .value_kind:     by_value
      - .offset:         72
        .size:           8
        .value_kind:     by_value
      - .offset:         80
        .size:           8
        .value_kind:     by_value
      - .address_space:  global
        .offset:         88
        .size:           8
        .value_kind:     global_buffer
      - .address_space:  global
        .offset:         96
        .size:           8
        .value_kind:     global_buffer
      - .offset:         104
        .size:           8
        .value_kind:     by_value
      - .offset:         112
        .size:           8
        .value_kind:     by_value
      - .offset:         120
        .size:           8
        .value_kind:     by_value
      - .offset:         128
        .size:           4
        .value_kind:     by_value
      - .offset:         136
        .size:           4
        .value_kind:     hidden_block_count_x
      - .offset:         140
        .size:           4
        .value_kind:     hidden_block_count_y
      - .offset:         144
        .size:           4
        .value_kind:     hidden_block_count_z
      - .offset:         148
        .size:           2
        .value_kind:     hidden_group_size_x
      - .offset:         150
        .size:           2
        .value_kind:     hidden_group_size_y
      - .offset:         152
        .size:           2
        .value_kind:     hidden_group_size_z
      - .offset:         154
        .size:           2
        .value_kind:     hidden_remainder_x
      - .offset:         156
        .size:           2
        .value_kind:     hidden_remainder_y
      - .offset:         158
        .size:           2
        .value_kind:     hidden_remainder_z
      - .offset:         176
        .size:           8
        .value_kind:     hidden_global_offset_x
      - .offset:         184
        .size:           8
        .value_kind:     hidden_global_offset_y
      - .offset:         192
        .size:           8
        .value_kind:     hidden_global_offset_z
      - .offset:         200
        .size:           2
        .value_kind:     hidden_grid_dims
    .group_segment_fixed_size: 16384
    .kernarg_segment_align: 8
    .kernarg_segment_size: 392
    .language:       OpenCL C
    .language_version:
      - 2
      - 0
    .max_flat_workgroup_size: 1024
    .name:           _ZL20rocblas_hbmvn_kernelILi64ELi16EPK19rocblas_complex_numIdES3_PS1_EvbiiT1_T2_lllS6_lllS5_T3_llli
    .private_segment_fixed_size: 0
    .sgpr_count:     56
    .sgpr_spill_count: 0
    .symbol:         _ZL20rocblas_hbmvn_kernelILi64ELi16EPK19rocblas_complex_numIdES3_PS1_EvbiiT1_T2_lllS6_lllS5_T3_llli.kd
    .uniform_work_group_size: 1
    .uses_dynamic_stack: false
    .vgpr_count:     33
    .vgpr_spill_count: 0
    .wavefront_size: 32
    .workgroup_processor_mode: 1
  - .args:
      - .offset:         0
        .size:           1
        .value_kind:     by_value
      - .offset:         4
        .size:           4
        .value_kind:     by_value
      - .offset:         8
        .size:           4
        .value_kind:     by_value
      - .offset:         16
        .size:           16
        .value_kind:     by_value
      - .address_space:  global
        .offset:         32
        .size:           8
        .value_kind:     global_buffer
      - .offset:         40
        .size:           8
        .value_kind:     by_value
      - .offset:         48
        .size:           8
        .value_kind:     by_value
      - .offset:         56
        .size:           8
        .value_kind:     by_value
      - .address_space:  global
        .offset:         64
        .size:           8
        .value_kind:     global_buffer
      - .offset:         72
        .size:           8
        .value_kind:     by_value
      - .offset:         80
        .size:           8
        .value_kind:     by_value
      - .offset:         88
        .size:           8
        .value_kind:     by_value
      - .offset:         96
        .size:           16
        .value_kind:     by_value
      - .address_space:  global
        .offset:         112
        .size:           8
        .value_kind:     global_buffer
      - .offset:         120
        .size:           8
        .value_kind:     by_value
      - .offset:         128
        .size:           8
        .value_kind:     by_value
      - .offset:         136
        .size:           8
        .value_kind:     by_value
      - .offset:         144
        .size:           4
        .value_kind:     by_value
      - .offset:         152
        .size:           4
        .value_kind:     hidden_block_count_x
      - .offset:         156
        .size:           4
        .value_kind:     hidden_block_count_y
      - .offset:         160
        .size:           4
        .value_kind:     hidden_block_count_z
      - .offset:         164
        .size:           2
        .value_kind:     hidden_group_size_x
      - .offset:         166
        .size:           2
        .value_kind:     hidden_group_size_y
      - .offset:         168
        .size:           2
        .value_kind:     hidden_group_size_z
      - .offset:         170
        .size:           2
        .value_kind:     hidden_remainder_x
      - .offset:         172
        .size:           2
        .value_kind:     hidden_remainder_y
      - .offset:         174
        .size:           2
        .value_kind:     hidden_remainder_z
      - .offset:         192
        .size:           8
        .value_kind:     hidden_global_offset_x
      - .offset:         200
        .size:           8
        .value_kind:     hidden_global_offset_y
      - .offset:         208
        .size:           8
        .value_kind:     hidden_global_offset_z
      - .offset:         216
        .size:           2
        .value_kind:     hidden_grid_dims
    .group_segment_fixed_size: 16384
    .kernarg_segment_align: 8
    .kernarg_segment_size: 408
    .language:       OpenCL C
    .language_version:
      - 2
      - 0
    .max_flat_workgroup_size: 1024
    .name:           _ZL20rocblas_hbmvn_kernelILi64ELi16E19rocblas_complex_numIdEPKS1_PS1_EvbiiT1_T2_lllS6_lllS5_T3_llli
    .private_segment_fixed_size: 0
    .sgpr_count:     56
    .sgpr_spill_count: 0
    .symbol:         _ZL20rocblas_hbmvn_kernelILi64ELi16E19rocblas_complex_numIdEPKS1_PS1_EvbiiT1_T2_lllS6_lllS5_T3_llli.kd
    .uniform_work_group_size: 1
    .uses_dynamic_stack: false
    .vgpr_count:     33
    .vgpr_spill_count: 0
    .wavefront_size: 32
    .workgroup_processor_mode: 1
  - .args:
      - .offset:         0
        .size:           1
        .value_kind:     by_value
      - .offset:         4
        .size:           4
        .value_kind:     by_value
      - .offset:         8
        .size:           4
        .value_kind:     by_value
      - .address_space:  global
        .offset:         16
        .size:           8
        .value_kind:     global_buffer
      - .address_space:  global
        .offset:         24
        .size:           8
        .value_kind:     global_buffer
      - .offset:         32
        .size:           8
        .value_kind:     by_value
      - .offset:         40
        .size:           8
        .value_kind:     by_value
      - .offset:         48
        .size:           8
        .value_kind:     by_value
      - .address_space:  global
        .offset:         56
        .size:           8
        .value_kind:     global_buffer
      - .offset:         64
        .size:           8
        .value_kind:     by_value
      - .offset:         72
        .size:           8
        .value_kind:     by_value
      - .offset:         80
        .size:           8
        .value_kind:     by_value
      - .address_space:  global
        .offset:         88
        .size:           8
        .value_kind:     global_buffer
      - .address_space:  global
        .offset:         96
        .size:           8
        .value_kind:     global_buffer
      - .offset:         104
        .size:           8
        .value_kind:     by_value
      - .offset:         112
        .size:           8
        .value_kind:     by_value
      - .offset:         120
        .size:           8
        .value_kind:     by_value
      - .offset:         128
        .size:           4
        .value_kind:     by_value
      - .offset:         136
        .size:           4
        .value_kind:     hidden_block_count_x
      - .offset:         140
        .size:           4
        .value_kind:     hidden_block_count_y
      - .offset:         144
        .size:           4
        .value_kind:     hidden_block_count_z
      - .offset:         148
        .size:           2
        .value_kind:     hidden_group_size_x
      - .offset:         150
        .size:           2
        .value_kind:     hidden_group_size_y
      - .offset:         152
        .size:           2
        .value_kind:     hidden_group_size_z
      - .offset:         154
        .size:           2
        .value_kind:     hidden_remainder_x
      - .offset:         156
        .size:           2
        .value_kind:     hidden_remainder_y
      - .offset:         158
        .size:           2
        .value_kind:     hidden_remainder_z
      - .offset:         176
        .size:           8
        .value_kind:     hidden_global_offset_x
      - .offset:         184
        .size:           8
        .value_kind:     hidden_global_offset_y
      - .offset:         192
        .size:           8
        .value_kind:     hidden_global_offset_z
      - .offset:         200
        .size:           2
        .value_kind:     hidden_grid_dims
    .group_segment_fixed_size: 8192
    .kernarg_segment_align: 8
    .kernarg_segment_size: 392
    .language:       OpenCL C
    .language_version:
      - 2
      - 0
    .max_flat_workgroup_size: 1024
    .name:           _ZL20rocblas_hbmvn_kernelILi64ELi16EPK19rocblas_complex_numIfEPKS3_PKPS1_EvbiiT1_T2_lllSA_lllS9_T3_llli
    .private_segment_fixed_size: 0
    .sgpr_count:     39
    .sgpr_spill_count: 0
    .symbol:         _ZL20rocblas_hbmvn_kernelILi64ELi16EPK19rocblas_complex_numIfEPKS3_PKPS1_EvbiiT1_T2_lllSA_lllS9_T3_llli.kd
    .uniform_work_group_size: 1
    .uses_dynamic_stack: false
    .vgpr_count:     23
    .vgpr_spill_count: 0
    .wavefront_size: 32
    .workgroup_processor_mode: 1
  - .args:
      - .offset:         0
        .size:           1
        .value_kind:     by_value
      - .offset:         4
        .size:           4
        .value_kind:     by_value
      - .offset:         8
        .size:           4
        .value_kind:     by_value
      - .offset:         12
        .size:           8
        .value_kind:     by_value
      - .address_space:  global
        .offset:         24
        .size:           8
        .value_kind:     global_buffer
      - .offset:         32
        .size:           8
        .value_kind:     by_value
      - .offset:         40
        .size:           8
        .value_kind:     by_value
      - .offset:         48
        .size:           8
        .value_kind:     by_value
      - .address_space:  global
        .offset:         56
        .size:           8
        .value_kind:     global_buffer
      - .offset:         64
        .size:           8
        .value_kind:     by_value
      - .offset:         72
        .size:           8
        .value_kind:     by_value
      - .offset:         80
        .size:           8
        .value_kind:     by_value
      - .offset:         88
        .size:           8
        .value_kind:     by_value
      - .address_space:  global
        .offset:         96
        .size:           8
        .value_kind:     global_buffer
      - .offset:         104
        .size:           8
        .value_kind:     by_value
      - .offset:         112
        .size:           8
        .value_kind:     by_value
      - .offset:         120
        .size:           8
        .value_kind:     by_value
      - .offset:         128
        .size:           4
        .value_kind:     by_value
      - .offset:         136
        .size:           4
        .value_kind:     hidden_block_count_x
      - .offset:         140
        .size:           4
        .value_kind:     hidden_block_count_y
      - .offset:         144
        .size:           4
        .value_kind:     hidden_block_count_z
      - .offset:         148
        .size:           2
        .value_kind:     hidden_group_size_x
      - .offset:         150
        .size:           2
        .value_kind:     hidden_group_size_y
      - .offset:         152
        .size:           2
        .value_kind:     hidden_group_size_z
      - .offset:         154
        .size:           2
        .value_kind:     hidden_remainder_x
      - .offset:         156
        .size:           2
        .value_kind:     hidden_remainder_y
      - .offset:         158
        .size:           2
        .value_kind:     hidden_remainder_z
      - .offset:         176
        .size:           8
        .value_kind:     hidden_global_offset_x
      - .offset:         184
        .size:           8
        .value_kind:     hidden_global_offset_y
      - .offset:         192
        .size:           8
        .value_kind:     hidden_global_offset_z
      - .offset:         200
        .size:           2
        .value_kind:     hidden_grid_dims
    .group_segment_fixed_size: 8192
    .kernarg_segment_align: 8
    .kernarg_segment_size: 392
    .language:       OpenCL C
    .language_version:
      - 2
      - 0
    .max_flat_workgroup_size: 1024
    .name:           _ZL20rocblas_hbmvn_kernelILi64ELi16E19rocblas_complex_numIfEPKPKS1_PKPS1_EvbiiT1_T2_lllSA_lllS9_T3_llli
    .private_segment_fixed_size: 0
    .sgpr_count:     39
    .sgpr_spill_count: 0
    .symbol:         _ZL20rocblas_hbmvn_kernelILi64ELi16E19rocblas_complex_numIfEPKPKS1_PKPS1_EvbiiT1_T2_lllSA_lllS9_T3_llli.kd
    .uniform_work_group_size: 1
    .uses_dynamic_stack: false
    .vgpr_count:     23
    .vgpr_spill_count: 0
    .wavefront_size: 32
    .workgroup_processor_mode: 1
  - .args:
      - .offset:         0
        .size:           1
        .value_kind:     by_value
      - .offset:         4
        .size:           4
        .value_kind:     by_value
      - .offset:         8
        .size:           4
        .value_kind:     by_value
      - .address_space:  global
        .offset:         16
        .size:           8
        .value_kind:     global_buffer
      - .address_space:  global
        .offset:         24
        .size:           8
        .value_kind:     global_buffer
      - .offset:         32
        .size:           8
        .value_kind:     by_value
      - .offset:         40
        .size:           8
        .value_kind:     by_value
      - .offset:         48
        .size:           8
        .value_kind:     by_value
      - .address_space:  global
        .offset:         56
        .size:           8
        .value_kind:     global_buffer
      - .offset:         64
        .size:           8
        .value_kind:     by_value
      - .offset:         72
        .size:           8
        .value_kind:     by_value
      - .offset:         80
        .size:           8
        .value_kind:     by_value
      - .address_space:  global
        .offset:         88
        .size:           8
        .value_kind:     global_buffer
      - .address_space:  global
        .offset:         96
        .size:           8
        .value_kind:     global_buffer
      - .offset:         104
        .size:           8
        .value_kind:     by_value
      - .offset:         112
        .size:           8
        .value_kind:     by_value
      - .offset:         120
        .size:           8
        .value_kind:     by_value
      - .offset:         128
        .size:           4
        .value_kind:     by_value
      - .offset:         136
        .size:           4
        .value_kind:     hidden_block_count_x
      - .offset:         140
        .size:           4
        .value_kind:     hidden_block_count_y
      - .offset:         144
        .size:           4
        .value_kind:     hidden_block_count_z
      - .offset:         148
        .size:           2
        .value_kind:     hidden_group_size_x
      - .offset:         150
        .size:           2
        .value_kind:     hidden_group_size_y
      - .offset:         152
        .size:           2
        .value_kind:     hidden_group_size_z
      - .offset:         154
        .size:           2
        .value_kind:     hidden_remainder_x
      - .offset:         156
        .size:           2
        .value_kind:     hidden_remainder_y
      - .offset:         158
        .size:           2
        .value_kind:     hidden_remainder_z
      - .offset:         176
        .size:           8
        .value_kind:     hidden_global_offset_x
      - .offset:         184
        .size:           8
        .value_kind:     hidden_global_offset_y
      - .offset:         192
        .size:           8
        .value_kind:     hidden_global_offset_z
      - .offset:         200
        .size:           2
        .value_kind:     hidden_grid_dims
    .group_segment_fixed_size: 16384
    .kernarg_segment_align: 8
    .kernarg_segment_size: 392
    .language:       OpenCL C
    .language_version:
      - 2
      - 0
    .max_flat_workgroup_size: 1024
    .name:           _ZL20rocblas_hbmvn_kernelILi64ELi16EPK19rocblas_complex_numIdEPKS3_PKPS1_EvbiiT1_T2_lllSA_lllS9_T3_llli
    .private_segment_fixed_size: 0
    .sgpr_count:     43
    .sgpr_spill_count: 0
    .symbol:         _ZL20rocblas_hbmvn_kernelILi64ELi16EPK19rocblas_complex_numIdEPKS3_PKPS1_EvbiiT1_T2_lllSA_lllS9_T3_llli.kd
    .uniform_work_group_size: 1
    .uses_dynamic_stack: false
    .vgpr_count:     31
    .vgpr_spill_count: 0
    .wavefront_size: 32
    .workgroup_processor_mode: 1
  - .args:
      - .offset:         0
        .size:           1
        .value_kind:     by_value
      - .offset:         4
        .size:           4
        .value_kind:     by_value
      - .offset:         8
        .size:           4
        .value_kind:     by_value
      - .offset:         16
        .size:           16
        .value_kind:     by_value
      - .address_space:  global
        .offset:         32
        .size:           8
        .value_kind:     global_buffer
      - .offset:         40
        .size:           8
        .value_kind:     by_value
      - .offset:         48
        .size:           8
        .value_kind:     by_value
      - .offset:         56
        .size:           8
        .value_kind:     by_value
      - .address_space:  global
        .offset:         64
        .size:           8
        .value_kind:     global_buffer
      - .offset:         72
        .size:           8
        .value_kind:     by_value
      - .offset:         80
        .size:           8
        .value_kind:     by_value
      - .offset:         88
        .size:           8
        .value_kind:     by_value
      - .offset:         96
        .size:           16
        .value_kind:     by_value
      - .address_space:  global
        .offset:         112
        .size:           8
        .value_kind:     global_buffer
      - .offset:         120
        .size:           8
        .value_kind:     by_value
      - .offset:         128
        .size:           8
        .value_kind:     by_value
      - .offset:         136
        .size:           8
        .value_kind:     by_value
      - .offset:         144
        .size:           4
        .value_kind:     by_value
      - .offset:         152
        .size:           4
        .value_kind:     hidden_block_count_x
      - .offset:         156
        .size:           4
        .value_kind:     hidden_block_count_y
      - .offset:         160
        .size:           4
        .value_kind:     hidden_block_count_z
      - .offset:         164
        .size:           2
        .value_kind:     hidden_group_size_x
      - .offset:         166
        .size:           2
        .value_kind:     hidden_group_size_y
      - .offset:         168
        .size:           2
        .value_kind:     hidden_group_size_z
      - .offset:         170
        .size:           2
        .value_kind:     hidden_remainder_x
      - .offset:         172
        .size:           2
        .value_kind:     hidden_remainder_y
      - .offset:         174
        .size:           2
        .value_kind:     hidden_remainder_z
      - .offset:         192
        .size:           8
        .value_kind:     hidden_global_offset_x
      - .offset:         200
        .size:           8
        .value_kind:     hidden_global_offset_y
      - .offset:         208
        .size:           8
        .value_kind:     hidden_global_offset_z
      - .offset:         216
        .size:           2
        .value_kind:     hidden_grid_dims
    .group_segment_fixed_size: 16384
    .kernarg_segment_align: 8
    .kernarg_segment_size: 408
    .language:       OpenCL C
    .language_version:
      - 2
      - 0
    .max_flat_workgroup_size: 1024
    .name:           _ZL20rocblas_hbmvn_kernelILi64ELi16E19rocblas_complex_numIdEPKPKS1_PKPS1_EvbiiT1_T2_lllSA_lllS9_T3_llli
    .private_segment_fixed_size: 0
    .sgpr_count:     43
    .sgpr_spill_count: 0
    .symbol:         _ZL20rocblas_hbmvn_kernelILi64ELi16E19rocblas_complex_numIdEPKPKS1_PKPS1_EvbiiT1_T2_lllSA_lllS9_T3_llli.kd
    .uniform_work_group_size: 1
    .uses_dynamic_stack: false
    .vgpr_count:     31
    .vgpr_spill_count: 0
    .wavefront_size: 32
    .workgroup_processor_mode: 1
amdhsa.target:   amdgcn-amd-amdhsa--gfx1100
amdhsa.version:
  - 1
  - 2
...

	.end_amdgpu_metadata
